;; amdgpu-corpus repo=ROCm/rocSOLVER kind=compiled arch=gfx906 opt=O3
	.amdgcn_target "amdgcn-amd-amdhsa--gfx906"
	.amdhsa_code_object_version 6
	.section	.text._ZN9rocsolver6v33100L10reset_infoIiiiEEvPT_T0_T1_S4_,"axG",@progbits,_ZN9rocsolver6v33100L10reset_infoIiiiEEvPT_T0_T1_S4_,comdat
	.globl	_ZN9rocsolver6v33100L10reset_infoIiiiEEvPT_T0_T1_S4_ ; -- Begin function _ZN9rocsolver6v33100L10reset_infoIiiiEEvPT_T0_T1_S4_
	.p2align	8
	.type	_ZN9rocsolver6v33100L10reset_infoIiiiEEvPT_T0_T1_S4_,@function
_ZN9rocsolver6v33100L10reset_infoIiiiEEvPT_T0_T1_S4_: ; @_ZN9rocsolver6v33100L10reset_infoIiiiEEvPT_T0_T1_S4_
; %bb.0:
	s_load_dword s7, s[4:5], 0x24
	s_load_dwordx4 s[0:3], s[4:5], 0x8
	s_waitcnt lgkmcnt(0)
	s_and_b32 s3, s7, 0xffff
	s_mul_i32 s6, s6, s3
	v_add_u32_e32 v0, s6, v0
	v_cmp_gt_i32_e32 vcc, s0, v0
	s_and_saveexec_b64 s[6:7], vcc
	s_cbranch_execz .LBB0_2
; %bb.1:
	s_load_dwordx2 s[4:5], s[4:5], 0x0
	v_ashrrev_i32_e32 v1, 31, v0
	v_mul_lo_u32 v2, v0, s2
	v_lshlrev_b64 v[0:1], 2, v[0:1]
	s_waitcnt lgkmcnt(0)
	v_mov_b32_e32 v3, s5
	v_add_co_u32_e32 v0, vcc, s4, v0
	v_addc_co_u32_e32 v1, vcc, v3, v1, vcc
	v_add_u32_e32 v2, s1, v2
	global_store_dword v[0:1], v2, off
.LBB0_2:
	s_endpgm
	.section	.rodata,"a",@progbits
	.p2align	6, 0x0
	.amdhsa_kernel _ZN9rocsolver6v33100L10reset_infoIiiiEEvPT_T0_T1_S4_
		.amdhsa_group_segment_fixed_size 0
		.amdhsa_private_segment_fixed_size 0
		.amdhsa_kernarg_size 280
		.amdhsa_user_sgpr_count 6
		.amdhsa_user_sgpr_private_segment_buffer 1
		.amdhsa_user_sgpr_dispatch_ptr 0
		.amdhsa_user_sgpr_queue_ptr 0
		.amdhsa_user_sgpr_kernarg_segment_ptr 1
		.amdhsa_user_sgpr_dispatch_id 0
		.amdhsa_user_sgpr_flat_scratch_init 0
		.amdhsa_user_sgpr_private_segment_size 0
		.amdhsa_uses_dynamic_stack 0
		.amdhsa_system_sgpr_private_segment_wavefront_offset 0
		.amdhsa_system_sgpr_workgroup_id_x 1
		.amdhsa_system_sgpr_workgroup_id_y 0
		.amdhsa_system_sgpr_workgroup_id_z 0
		.amdhsa_system_sgpr_workgroup_info 0
		.amdhsa_system_vgpr_workitem_id 0
		.amdhsa_next_free_vgpr 4
		.amdhsa_next_free_sgpr 8
		.amdhsa_reserve_vcc 1
		.amdhsa_reserve_flat_scratch 0
		.amdhsa_float_round_mode_32 0
		.amdhsa_float_round_mode_16_64 0
		.amdhsa_float_denorm_mode_32 3
		.amdhsa_float_denorm_mode_16_64 3
		.amdhsa_dx10_clamp 1
		.amdhsa_ieee_mode 1
		.amdhsa_fp16_overflow 0
		.amdhsa_exception_fp_ieee_invalid_op 0
		.amdhsa_exception_fp_denorm_src 0
		.amdhsa_exception_fp_ieee_div_zero 0
		.amdhsa_exception_fp_ieee_overflow 0
		.amdhsa_exception_fp_ieee_underflow 0
		.amdhsa_exception_fp_ieee_inexact 0
		.amdhsa_exception_int_div_zero 0
	.end_amdhsa_kernel
	.section	.text._ZN9rocsolver6v33100L10reset_infoIiiiEEvPT_T0_T1_S4_,"axG",@progbits,_ZN9rocsolver6v33100L10reset_infoIiiiEEvPT_T0_T1_S4_,comdat
.Lfunc_end0:
	.size	_ZN9rocsolver6v33100L10reset_infoIiiiEEvPT_T0_T1_S4_, .Lfunc_end0-_ZN9rocsolver6v33100L10reset_infoIiiiEEvPT_T0_T1_S4_
                                        ; -- End function
	.set _ZN9rocsolver6v33100L10reset_infoIiiiEEvPT_T0_T1_S4_.num_vgpr, 4
	.set _ZN9rocsolver6v33100L10reset_infoIiiiEEvPT_T0_T1_S4_.num_agpr, 0
	.set _ZN9rocsolver6v33100L10reset_infoIiiiEEvPT_T0_T1_S4_.numbered_sgpr, 8
	.set _ZN9rocsolver6v33100L10reset_infoIiiiEEvPT_T0_T1_S4_.num_named_barrier, 0
	.set _ZN9rocsolver6v33100L10reset_infoIiiiEEvPT_T0_T1_S4_.private_seg_size, 0
	.set _ZN9rocsolver6v33100L10reset_infoIiiiEEvPT_T0_T1_S4_.uses_vcc, 1
	.set _ZN9rocsolver6v33100L10reset_infoIiiiEEvPT_T0_T1_S4_.uses_flat_scratch, 0
	.set _ZN9rocsolver6v33100L10reset_infoIiiiEEvPT_T0_T1_S4_.has_dyn_sized_stack, 0
	.set _ZN9rocsolver6v33100L10reset_infoIiiiEEvPT_T0_T1_S4_.has_recursion, 0
	.set _ZN9rocsolver6v33100L10reset_infoIiiiEEvPT_T0_T1_S4_.has_indirect_call, 0
	.section	.AMDGPU.csdata,"",@progbits
; Kernel info:
; codeLenInByte = 108
; TotalNumSgprs: 12
; NumVgprs: 4
; ScratchSize: 0
; MemoryBound: 0
; FloatMode: 240
; IeeeMode: 1
; LDSByteSize: 0 bytes/workgroup (compile time only)
; SGPRBlocks: 1
; VGPRBlocks: 0
; NumSGPRsForWavesPerEU: 12
; NumVGPRsForWavesPerEU: 4
; Occupancy: 10
; WaveLimiterHint : 0
; COMPUTE_PGM_RSRC2:SCRATCH_EN: 0
; COMPUTE_PGM_RSRC2:USER_SGPR: 6
; COMPUTE_PGM_RSRC2:TRAP_HANDLER: 0
; COMPUTE_PGM_RSRC2:TGID_X_EN: 1
; COMPUTE_PGM_RSRC2:TGID_Y_EN: 0
; COMPUTE_PGM_RSRC2:TGID_Z_EN: 0
; COMPUTE_PGM_RSRC2:TIDIG_COMP_CNT: 0
	.section	.text._ZN9rocsolver6v33100L18stebz_case1_kernelIfPfEEv15rocblas_erange_T_S4_T0_ilPiS6_PS4_lS6_lS6_li,"axG",@progbits,_ZN9rocsolver6v33100L18stebz_case1_kernelIfPfEEv15rocblas_erange_T_S4_T0_ilPiS6_PS4_lS6_lS6_li,comdat
	.globl	_ZN9rocsolver6v33100L18stebz_case1_kernelIfPfEEv15rocblas_erange_T_S4_T0_ilPiS6_PS4_lS6_lS6_li ; -- Begin function _ZN9rocsolver6v33100L18stebz_case1_kernelIfPfEEv15rocblas_erange_T_S4_T0_ilPiS6_PS4_lS6_lS6_li
	.p2align	8
	.type	_ZN9rocsolver6v33100L18stebz_case1_kernelIfPfEEv15rocblas_erange_T_S4_T0_ilPiS6_PS4_lS6_lS6_li,@function
_ZN9rocsolver6v33100L18stebz_case1_kernelIfPfEEv15rocblas_erange_T_S4_T0_ilPiS6_PS4_lS6_lS6_li: ; @_ZN9rocsolver6v33100L18stebz_case1_kernelIfPfEEv15rocblas_erange_T_S4_T0_ilPiS6_PS4_lS6_lS6_li
; %bb.0:
	s_load_dword s0, s[4:5], 0x7c
	s_load_dword s1, s[4:5], 0x68
	s_waitcnt lgkmcnt(0)
	s_and_b32 s0, s0, 0xffff
	s_mul_i32 s6, s6, s0
	v_add_u32_e32 v0, s6, v0
	v_cmp_gt_i32_e32 vcc, s1, v0
	s_and_saveexec_b64 s[0:1], vcc
	s_cbranch_execz .LBB1_7
; %bb.1:
	s_load_dwordx16 s[8:23], s[4:5], 0x20
	s_load_dword s0, s[4:5], 0x18
	v_ashrrev_i32_e32 v1, 31, v0
	v_mov_b32_e32 v9, 1
	s_waitcnt lgkmcnt(0)
	v_mul_lo_u32 v4, s9, v0
	v_mul_lo_u32 v5, s8, v1
	v_mad_u64_u32 v[2:3], s[2:3], s8, v0, 0
	s_load_dwordx2 s[2:3], s[4:5], 0x10
	s_ashr_i32 s1, s0, 31
	v_add3_u32 v3, v3, v5, v4
	v_lshlrev_b64 v[2:3], 2, v[2:3]
	s_lshl_b64 s[0:1], s[0:1], 2
	s_waitcnt lgkmcnt(0)
	v_mov_b32_e32 v4, s3
	v_add_co_u32_e32 v2, vcc, s2, v2
	v_addc_co_u32_e32 v3, vcc, v4, v3, vcc
	v_mov_b32_e32 v4, s1
	v_add_co_u32_e32 v2, vcc, s0, v2
	v_addc_co_u32_e32 v3, vcc, v3, v4, vcc
	global_load_dword v4, v[2:3], off
	s_load_dwordx2 s[0:1], s[4:5], 0x60
	v_mov_b32_e32 v8, s13
	s_waitcnt lgkmcnt(0)
	v_mul_lo_u32 v5, s1, v0
	v_mul_lo_u32 v6, s0, v1
	v_mad_u64_u32 v[2:3], s[0:1], s0, v0, 0
	s_load_dwordx4 s[0:3], s[4:5], 0x0
	v_add3_u32 v3, v3, v6, v5
	v_lshlrev_b64 v[2:3], 2, v[2:3]
	v_mov_b32_e32 v6, s23
	v_add_co_u32_e32 v5, vcc, s22, v2
	v_addc_co_u32_e32 v6, vcc, v6, v3, vcc
	v_lshlrev_b64 v[2:3], 2, v[0:1]
	s_waitcnt lgkmcnt(0)
	s_cmpk_lg_i32 s0, 0xe8
	v_add_co_u32_e32 v7, vcc, s12, v2
	v_addc_co_u32_e32 v8, vcc, v8, v3, vcc
	s_cselect_b64 s[4:5], -1, 0
	s_and_b64 vcc, exec, s[4:5]
	global_store_dword v[7:8], v9, off
	global_store_dword v[5:6], v9, off
	s_cbranch_vccnz .LBB1_3
; %bb.2:
	s_waitcnt vmcnt(2)
	v_cmp_nge_f32_e32 vcc, s1, v4
	v_cmp_nlt_f32_e64 s[0:1], s2, v4
	s_and_b64 s[2:3], vcc, s[0:1]
	s_andn2_b64 s[4:5], s[4:5], exec
	s_and_b64 s[2:3], s[2:3], exec
	s_mov_b64 s[0:1], -1
	s_or_b64 s[4:5], s[4:5], s[2:3]
	s_and_saveexec_b64 s[2:3], s[4:5]
	s_xor_b64 s[2:3], exec, s[2:3]
	s_cbranch_execnz .LBB1_4
	s_branch .LBB1_5
.LBB1_3:
	s_mov_b64 s[0:1], 0
	s_and_saveexec_b64 s[2:3], s[4:5]
	s_xor_b64 s[2:3], exec, s[2:3]
	s_cbranch_execz .LBB1_5
.LBB1_4:
	v_mul_lo_u32 v7, s17, v0
	v_mul_lo_u32 v8, s16, v1
	v_mad_u64_u32 v[5:6], s[4:5], s16, v0, 0
	v_mul_lo_u32 v9, s20, v1
	s_andn2_b64 s[0:1], s[0:1], exec
	v_add3_u32 v6, v6, v8, v7
	v_mul_lo_u32 v8, s21, v0
	v_mad_u64_u32 v[0:1], s[4:5], s20, v0, 0
	v_lshlrev_b64 v[5:6], 2, v[5:6]
	v_mov_b32_e32 v7, s15
	v_add3_u32 v1, v1, v9, v8
	v_add_co_u32_e32 v5, vcc, s14, v5
	v_lshlrev_b64 v[0:1], 2, v[0:1]
	v_addc_co_u32_e32 v6, vcc, v7, v6, vcc
	v_mov_b32_e32 v7, s19
	v_add_co_u32_e32 v0, vcc, s18, v0
	v_addc_co_u32_e32 v1, vcc, v7, v1, vcc
	v_mov_b32_e32 v8, s11
	v_add_co_u32_e32 v7, vcc, s10, v2
	v_addc_co_u32_e32 v8, vcc, v8, v3, vcc
	v_mov_b32_e32 v9, 1
	global_store_dword v[7:8], v9, off
	s_waitcnt vmcnt(3)
	global_store_dword v[5:6], v4, off
	global_store_dword v[0:1], v9, off
.LBB1_5:
	s_or_b64 exec, exec, s[2:3]
	s_and_b64 exec, exec, s[0:1]
	s_cbranch_execz .LBB1_7
; %bb.6:
	v_mov_b32_e32 v1, s11
	v_add_co_u32_e32 v0, vcc, s10, v2
	v_addc_co_u32_e32 v1, vcc, v1, v3, vcc
	v_mov_b32_e32 v2, 0
	global_store_dword v[0:1], v2, off
.LBB1_7:
	s_endpgm
	.section	.rodata,"a",@progbits
	.p2align	6, 0x0
	.amdhsa_kernel _ZN9rocsolver6v33100L18stebz_case1_kernelIfPfEEv15rocblas_erange_T_S4_T0_ilPiS6_PS4_lS6_lS6_li
		.amdhsa_group_segment_fixed_size 0
		.amdhsa_private_segment_fixed_size 0
		.amdhsa_kernarg_size 368
		.amdhsa_user_sgpr_count 6
		.amdhsa_user_sgpr_private_segment_buffer 1
		.amdhsa_user_sgpr_dispatch_ptr 0
		.amdhsa_user_sgpr_queue_ptr 0
		.amdhsa_user_sgpr_kernarg_segment_ptr 1
		.amdhsa_user_sgpr_dispatch_id 0
		.amdhsa_user_sgpr_flat_scratch_init 0
		.amdhsa_user_sgpr_private_segment_size 0
		.amdhsa_uses_dynamic_stack 0
		.amdhsa_system_sgpr_private_segment_wavefront_offset 0
		.amdhsa_system_sgpr_workgroup_id_x 1
		.amdhsa_system_sgpr_workgroup_id_y 0
		.amdhsa_system_sgpr_workgroup_id_z 0
		.amdhsa_system_sgpr_workgroup_info 0
		.amdhsa_system_vgpr_workitem_id 0
		.amdhsa_next_free_vgpr 10
		.amdhsa_next_free_sgpr 24
		.amdhsa_reserve_vcc 1
		.amdhsa_reserve_flat_scratch 0
		.amdhsa_float_round_mode_32 0
		.amdhsa_float_round_mode_16_64 0
		.amdhsa_float_denorm_mode_32 3
		.amdhsa_float_denorm_mode_16_64 3
		.amdhsa_dx10_clamp 1
		.amdhsa_ieee_mode 1
		.amdhsa_fp16_overflow 0
		.amdhsa_exception_fp_ieee_invalid_op 0
		.amdhsa_exception_fp_denorm_src 0
		.amdhsa_exception_fp_ieee_div_zero 0
		.amdhsa_exception_fp_ieee_overflow 0
		.amdhsa_exception_fp_ieee_underflow 0
		.amdhsa_exception_fp_ieee_inexact 0
		.amdhsa_exception_int_div_zero 0
	.end_amdhsa_kernel
	.section	.text._ZN9rocsolver6v33100L18stebz_case1_kernelIfPfEEv15rocblas_erange_T_S4_T0_ilPiS6_PS4_lS6_lS6_li,"axG",@progbits,_ZN9rocsolver6v33100L18stebz_case1_kernelIfPfEEv15rocblas_erange_T_S4_T0_ilPiS6_PS4_lS6_lS6_li,comdat
.Lfunc_end1:
	.size	_ZN9rocsolver6v33100L18stebz_case1_kernelIfPfEEv15rocblas_erange_T_S4_T0_ilPiS6_PS4_lS6_lS6_li, .Lfunc_end1-_ZN9rocsolver6v33100L18stebz_case1_kernelIfPfEEv15rocblas_erange_T_S4_T0_ilPiS6_PS4_lS6_lS6_li
                                        ; -- End function
	.set _ZN9rocsolver6v33100L18stebz_case1_kernelIfPfEEv15rocblas_erange_T_S4_T0_ilPiS6_PS4_lS6_lS6_li.num_vgpr, 10
	.set _ZN9rocsolver6v33100L18stebz_case1_kernelIfPfEEv15rocblas_erange_T_S4_T0_ilPiS6_PS4_lS6_lS6_li.num_agpr, 0
	.set _ZN9rocsolver6v33100L18stebz_case1_kernelIfPfEEv15rocblas_erange_T_S4_T0_ilPiS6_PS4_lS6_lS6_li.numbered_sgpr, 24
	.set _ZN9rocsolver6v33100L18stebz_case1_kernelIfPfEEv15rocblas_erange_T_S4_T0_ilPiS6_PS4_lS6_lS6_li.num_named_barrier, 0
	.set _ZN9rocsolver6v33100L18stebz_case1_kernelIfPfEEv15rocblas_erange_T_S4_T0_ilPiS6_PS4_lS6_lS6_li.private_seg_size, 0
	.set _ZN9rocsolver6v33100L18stebz_case1_kernelIfPfEEv15rocblas_erange_T_S4_T0_ilPiS6_PS4_lS6_lS6_li.uses_vcc, 1
	.set _ZN9rocsolver6v33100L18stebz_case1_kernelIfPfEEv15rocblas_erange_T_S4_T0_ilPiS6_PS4_lS6_lS6_li.uses_flat_scratch, 0
	.set _ZN9rocsolver6v33100L18stebz_case1_kernelIfPfEEv15rocblas_erange_T_S4_T0_ilPiS6_PS4_lS6_lS6_li.has_dyn_sized_stack, 0
	.set _ZN9rocsolver6v33100L18stebz_case1_kernelIfPfEEv15rocblas_erange_T_S4_T0_ilPiS6_PS4_lS6_lS6_li.has_recursion, 0
	.set _ZN9rocsolver6v33100L18stebz_case1_kernelIfPfEEv15rocblas_erange_T_S4_T0_ilPiS6_PS4_lS6_lS6_li.has_indirect_call, 0
	.section	.AMDGPU.csdata,"",@progbits
; Kernel info:
; codeLenInByte = 556
; TotalNumSgprs: 28
; NumVgprs: 10
; ScratchSize: 0
; MemoryBound: 0
; FloatMode: 240
; IeeeMode: 1
; LDSByteSize: 0 bytes/workgroup (compile time only)
; SGPRBlocks: 3
; VGPRBlocks: 2
; NumSGPRsForWavesPerEU: 28
; NumVGPRsForWavesPerEU: 10
; Occupancy: 10
; WaveLimiterHint : 0
; COMPUTE_PGM_RSRC2:SCRATCH_EN: 0
; COMPUTE_PGM_RSRC2:USER_SGPR: 6
; COMPUTE_PGM_RSRC2:TRAP_HANDLER: 0
; COMPUTE_PGM_RSRC2:TGID_X_EN: 1
; COMPUTE_PGM_RSRC2:TGID_Y_EN: 0
; COMPUTE_PGM_RSRC2:TGID_Z_EN: 0
; COMPUTE_PGM_RSRC2:TIDIG_COMP_CNT: 0
	.section	.text._ZN9rocsolver6v33100L22stebz_splitting_kernelIfPfEEv15rocblas_erange_iT_S4_iiT0_iiS5_iiPiPS4_lS6_lS6_S7_S7_S7_S7_S6_S4_S4_,"axG",@progbits,_ZN9rocsolver6v33100L22stebz_splitting_kernelIfPfEEv15rocblas_erange_iT_S4_iiT0_iiS5_iiPiPS4_lS6_lS6_S7_S7_S7_S7_S6_S4_S4_,comdat
	.globl	_ZN9rocsolver6v33100L22stebz_splitting_kernelIfPfEEv15rocblas_erange_iT_S4_iiT0_iiS5_iiPiPS4_lS6_lS6_S7_S7_S7_S7_S6_S4_S4_ ; -- Begin function _ZN9rocsolver6v33100L22stebz_splitting_kernelIfPfEEv15rocblas_erange_iT_S4_iiT0_iiS5_iiPiPS4_lS6_lS6_S7_S7_S7_S7_S6_S4_S4_
	.p2align	8
	.type	_ZN9rocsolver6v33100L22stebz_splitting_kernelIfPfEEv15rocblas_erange_iT_S4_iiT0_iiS5_iiPiPS4_lS6_lS6_S7_S7_S7_S7_S6_S4_S4_,@function
_ZN9rocsolver6v33100L22stebz_splitting_kernelIfPfEEv15rocblas_erange_iT_S4_iiT0_iiS5_iiPiPS4_lS6_lS6_S7_S7_S7_S7_S6_S4_S4_: ; @_ZN9rocsolver6v33100L22stebz_splitting_kernelIfPfEEv15rocblas_erange_iT_S4_iiT0_iiS5_iiPiPS4_lS6_lS6_S7_S7_S7_S7_S6_S4_S4_
; %bb.0:
	s_load_dwordx4 s[24:27], s[4:5], 0x0
	s_load_dwordx2 s[36:37], s[4:5], 0x10
	s_mov_b32 s34, s7
	v_mov_b32_e32 v3, 0
	v_lshlrev_b32_e32 v14, 2, v0
	s_waitcnt lgkmcnt(0)
	s_add_i32 s33, s25, -1
	s_ashr_i32 s0, s33, 31
	s_lshr_b32 s0, s0, 24
	s_add_i32 s0, s33, s0
	s_ashr_i32 s1, s0, 8
	s_and_b32 s0, s0, 0xffffff00
	s_sub_i32 s0, s33, s0
	v_mov_b32_e32 v1, s1
	v_cmp_gt_i32_e32 vcc, s0, v0
	v_addc_co_u32_e32 v16, vcc, 0, v1, vcc
	v_cmp_eq_u32_e64 s[0:1], 0, v0
	v_cmp_ne_u32_e32 vcc, 0, v0
	v_add_u32_e32 v15, -1, v0
	ds_write_b32 v14, v16
	s_waitcnt lgkmcnt(0)
	s_barrier
	s_and_saveexec_b64 s[6:7], vcc
	s_cbranch_execz .LBB2_10
; %bb.1:
	v_cmp_lt_u32_e64 s[2:3], 6, v15
	v_mov_b32_e32 v3, 0
	v_mov_b32_e32 v1, 0
	s_and_saveexec_b64 s[8:9], s[2:3]
	s_cbranch_execz .LBB2_5
; %bb.2:
	v_and_b32_e32 v1, 0xf8, v0
	s_mov_b32 s12, 0
	s_mov_b64 s[10:11], 0
	v_mov_b32_e32 v3, 0
	s_mov_b32 s13, 0
.LBB2_3:                                ; =>This Inner Loop Header: Depth=1
	v_mov_b32_e32 v2, s12
	ds_read_b128 v[4:7], v2
	ds_read_b128 v[8:11], v2 offset:16
	s_add_i32 s13, s13, 8
	s_add_i32 s12, s12, 32
	v_cmp_eq_u32_e64 s[2:3], s13, v1
	s_waitcnt lgkmcnt(1)
	v_add_u32_e32 v2, v4, v3
	v_add_u32_e32 v2, v5, v2
	;; [unrolled: 1-line block ×4, first 2 shown]
	s_waitcnt lgkmcnt(0)
	v_add_u32_e32 v2, v8, v2
	v_add_u32_e32 v2, v9, v2
	;; [unrolled: 1-line block ×3, first 2 shown]
	s_or_b64 s[10:11], s[2:3], s[10:11]
	v_add_u32_e32 v3, v11, v2
	s_andn2_b64 exec, exec, s[10:11]
	s_cbranch_execnz .LBB2_3
; %bb.4:
	s_or_b64 exec, exec, s[10:11]
.LBB2_5:
	s_or_b64 exec, exec, s[8:9]
	v_and_b32_e32 v2, 7, v0
	v_cmp_ne_u32_e64 s[2:3], 0, v2
	s_and_saveexec_b64 s[8:9], s[2:3]
	s_cbranch_execz .LBB2_9
; %bb.6:
	v_lshlrev_b32_e32 v1, 2, v1
	s_mov_b64 s[10:11], 0
.LBB2_7:                                ; =>This Inner Loop Header: Depth=1
	ds_read_b32 v4, v1
	v_add_u32_e32 v2, -1, v2
	v_cmp_eq_u32_e64 s[2:3], 0, v2
	v_add_u32_e32 v1, 4, v1
	s_or_b64 s[10:11], s[2:3], s[10:11]
	s_waitcnt lgkmcnt(0)
	v_add_u32_e32 v3, v4, v3
	s_andn2_b64 exec, exec, s[10:11]
	s_cbranch_execnz .LBB2_7
; %bb.8:
	s_or_b64 exec, exec, s[10:11]
.LBB2_9:
	s_or_b64 exec, exec, s[8:9]
.LBB2_10:
	s_or_b64 exec, exec, s[6:7]
	s_load_dwordx4 s[28:31], s[4:5], 0x18
	s_load_dwordx16 s[8:23], s[4:5], 0x38
	s_load_dwordx2 s[38:39], s[4:5], 0x90
	s_mul_i32 s2, s25, s34
	s_ashr_i32 s3, s2, 31
	s_waitcnt lgkmcnt(0)
	s_ashr_i32 s41, s30, 31
	s_mov_b32 s40, s30
	s_mul_i32 s30, s33, s34
	s_ashr_i32 s35, s34, 31
	s_mul_hi_i32 s43, s31, s34
	s_mul_i32 s42, s31, s34
	s_ashr_i32 s31, s30, 31
	s_lshl_b64 s[2:3], s[2:3], 2
	v_ashrrev_i32_e32 v4, 31, v3
	s_add_u32 s2, s18, s2
	v_lshlrev_b64 v[12:13], 2, v[3:4]
	s_addc_u32 s3, s19, s3
	s_mul_hi_u32 s6, s12, s34
	s_mul_i32 s7, s12, s35
	v_mov_b32_e32 v2, s3
	v_add_co_u32_e64 v1, s[2:3], s2, v12
	s_add_i32 s6, s6, s7
	s_mul_i32 s7, s13, s34
	v_addc_co_u32_e64 v2, s[2:3], v2, v13, s[2:3]
	s_add_i32 s19, s6, s7
	s_mul_i32 s18, s12, s34
	v_mov_b32_e32 v4, 0
	v_cmp_lt_i32_e64 s[2:3], 0, v16
	s_and_saveexec_b64 s[6:7], s[2:3]
	s_cbranch_execz .LBB2_16
; %bb.11:
	s_load_dwordx4 s[44:47], s[4:5], 0x28
	v_mov_b32_e32 v17, s39
	s_waitcnt lgkmcnt(0)
	s_ashr_i32 s3, s46, 31
	s_mov_b32 s2, s46
	s_mul_hi_i32 s13, s34, s47
	s_mul_i32 s12, s34, s47
	s_lshl_b64 s[12:13], s[12:13], 2
	s_lshl_b64 s[2:3], s[2:3], 2
	s_add_u32 s2, s12, s2
	s_addc_u32 s3, s13, s3
	s_add_u32 s2, s44, s2
	s_addc_u32 s3, s45, s3
	v_mov_b32_e32 v4, s3
	v_add_co_u32_e64 v6, s[2:3], s2, v12
	v_addc_co_u32_e64 v7, s[2:3], v4, v13, s[2:3]
	s_lshl_b64 s[2:3], s[42:43], 2
	s_lshl_b64 s[12:13], s[40:41], 2
	s_add_u32 s2, s2, s12
	s_addc_u32 s3, s3, s13
	s_add_u32 s2, s28, s2
	s_addc_u32 s3, s29, s3
	v_mov_b32_e32 v4, s3
	v_add_co_u32_e64 v8, s[2:3], s2, v12
	v_addc_co_u32_e64 v9, s[2:3], v4, v13, s[2:3]
	s_lshl_b64 s[2:3], s[30:31], 2
	s_add_u32 s2, s22, s2
	s_addc_u32 s3, s23, s3
	v_mov_b32_e32 v4, s3
	v_add_co_u32_e64 v10, s[2:3], s2, v12
	v_addc_co_u32_e64 v11, s[2:3], v4, v13, s[2:3]
	s_lshl_b64 s[2:3], s[18:19], 2
	s_add_u32 s2, s10, s2
	s_addc_u32 s3, s11, s3
	v_mov_b32_e32 v4, s3
	v_add_co_u32_e64 v12, s[2:3], s2, v12
	v_addc_co_u32_e64 v13, s[2:3], v4, v13, s[2:3]
	v_mov_b32_e32 v4, 0
	s_mov_b64 s[12:13], 0
	s_branch .LBB2_13
.LBB2_12:                               ;   in Loop: Header=BB2_13 Depth=1
	s_or_b64 exec, exec, s[44:45]
	v_add_co_u32_e64 v6, s[2:3], 4, v6
	v_addc_co_u32_e64 v7, s[2:3], 0, v7, s[2:3]
	v_add_co_u32_e64 v8, s[2:3], 4, v8
	v_addc_co_u32_e64 v9, s[2:3], 0, v9, s[2:3]
	global_store_dword v[10:11], v18, off
	global_store_dword v[12:13], v5, off
	v_add_co_u32_e64 v10, s[2:3], 4, v10
	v_add_u32_e32 v16, -1, v16
	v_addc_co_u32_e64 v11, s[2:3], 0, v11, s[2:3]
	v_cmp_eq_u32_e64 s[2:3], 0, v16
	s_or_b64 s[12:13], s[2:3], s[12:13]
	v_add_co_u32_e64 v12, s[2:3], 4, v12
	v_add_u32_e32 v3, 1, v3
	v_addc_co_u32_e64 v13, s[2:3], 0, v13, s[2:3]
	s_andn2_b64 exec, exec, s[12:13]
	s_cbranch_execz .LBB2_15
.LBB2_13:                               ; =>This Inner Loop Header: Depth=1
	global_load_dword v5, v[6:7], off
	global_load_dwordx2 v[19:20], v[8:9], off
	s_waitcnt vmcnt(1)
	v_mul_f32_e32 v18, v5, v5
	s_waitcnt vmcnt(0)
	v_mul_f32_e32 v19, v19, v20
	v_mul_f32_e64 v19, s38, |v19|
	v_fma_f32 v19, s38, v19, v17
	v_cmp_gt_f32_e64 s[2:3], v19, v18
	s_and_saveexec_b64 s[44:45], s[2:3]
	s_cbranch_execz .LBB2_12
; %bb.14:                               ;   in Loop: Header=BB2_13 Depth=1
	v_ashrrev_i32_e32 v5, 31, v4
	v_add_u32_e32 v19, 1, v4
	v_lshlrev_b64 v[4:5], 2, v[4:5]
	v_mov_b32_e32 v18, 0
	v_add_co_u32_e64 v4, s[2:3], v1, v4
	v_addc_co_u32_e64 v5, s[2:3], v2, v5, s[2:3]
	global_store_dword v[4:5], v3, off
	v_mov_b32_e32 v5, 0
	v_mov_b32_e32 v4, v19
	s_branch .LBB2_12
.LBB2_15:
	s_or_b64 exec, exec, s[12:13]
.LBB2_16:
	s_or_b64 exec, exec, s[6:7]
	v_mov_b32_e32 v5, 0
	ds_write_b32 v14, v4
	s_waitcnt vmcnt(0) lgkmcnt(0)
	s_barrier
	s_and_saveexec_b64 s[2:3], vcc
	s_cbranch_execz .LBB2_26
; %bb.17:
	v_cmp_lt_u32_e32 vcc, 6, v15
	v_mov_b32_e32 v5, 0
	v_mov_b32_e32 v3, 0
	s_and_saveexec_b64 s[6:7], vcc
	s_cbranch_execz .LBB2_21
; %bb.18:
	v_and_b32_e32 v3, 0xf8, v0
	s_mov_b32 s44, 0
	s_mov_b64 s[12:13], 0
	v_mov_b32_e32 v5, 0
	s_mov_b32 s45, 0
.LBB2_19:                               ; =>This Inner Loop Header: Depth=1
	v_mov_b32_e32 v10, s44
	ds_read_b128 v[6:9], v10
	ds_read_b128 v[10:13], v10 offset:16
	s_add_i32 s45, s45, 8
	s_add_i32 s44, s44, 32
	v_cmp_eq_u32_e32 vcc, s45, v3
	s_waitcnt lgkmcnt(1)
	v_add_u32_e32 v5, v6, v5
	v_add_u32_e32 v5, v7, v5
	;; [unrolled: 1-line block ×4, first 2 shown]
	s_waitcnt lgkmcnt(0)
	v_add_u32_e32 v5, v10, v5
	v_add_u32_e32 v5, v11, v5
	;; [unrolled: 1-line block ×3, first 2 shown]
	s_or_b64 s[12:13], vcc, s[12:13]
	v_add_u32_e32 v5, v13, v5
	s_andn2_b64 exec, exec, s[12:13]
	s_cbranch_execnz .LBB2_19
; %bb.20:
	s_or_b64 exec, exec, s[12:13]
.LBB2_21:
	s_or_b64 exec, exec, s[6:7]
	v_and_b32_e32 v6, 7, v0
	v_cmp_ne_u32_e32 vcc, 0, v6
	s_and_saveexec_b64 s[6:7], vcc
	s_cbranch_execz .LBB2_25
; %bb.22:
	v_lshlrev_b32_e32 v3, 2, v3
	s_mov_b64 s[12:13], 0
.LBB2_23:                               ; =>This Inner Loop Header: Depth=1
	ds_read_b32 v7, v3
	v_add_u32_e32 v6, -1, v6
	v_cmp_eq_u32_e32 vcc, 0, v6
	v_add_u32_e32 v3, 4, v3
	s_or_b64 s[12:13], vcc, s[12:13]
	s_waitcnt lgkmcnt(0)
	v_add_u32_e32 v5, v7, v5
	s_andn2_b64 exec, exec, s[12:13]
	s_cbranch_execnz .LBB2_23
; %bb.24:
	s_or_b64 exec, exec, s[12:13]
.LBB2_25:
	s_or_b64 exec, exec, s[6:7]
.LBB2_26:
	s_or_b64 exec, exec, s[2:3]
	s_mul_i32 s2, s16, s35
	s_mul_hi_u32 s3, s16, s34
	s_add_i32 s2, s3, s2
	s_mul_i32 s3, s17, s34
	s_add_i32 s7, s2, s3
	s_mul_i32 s6, s16, s34
	v_cmp_lt_i32_e32 vcc, 0, v4
	s_and_saveexec_b64 s[2:3], vcc
	s_cbranch_execz .LBB2_29
; %bb.27:
	s_lshl_b64 s[12:13], s[6:7], 2
	v_ashrrev_i32_e32 v6, 31, v5
	v_lshlrev_b64 v[6:7], 2, v[5:6]
	s_add_u32 s12, s14, s12
	s_addc_u32 s13, s15, s13
	v_mov_b32_e32 v3, s13
	v_add_co_u32_e32 v6, vcc, s12, v6
	v_addc_co_u32_e32 v7, vcc, v3, v7, vcc
	s_mov_b64 s[12:13], 0
	v_mov_b32_e32 v3, v4
.LBB2_28:                               ; =>This Inner Loop Header: Depth=1
	global_load_dword v8, v[1:2], off
	v_add_co_u32_e32 v1, vcc, 4, v1
	v_add_u32_e32 v3, -1, v3
	v_addc_co_u32_e32 v2, vcc, 0, v2, vcc
	v_cmp_eq_u32_e32 vcc, 0, v3
	s_or_b64 s[12:13], vcc, s[12:13]
	s_waitcnt vmcnt(0)
	v_add_u32_e32 v8, 1, v8
	global_store_dword v[6:7], v8, off
	v_add_co_u32_e32 v6, vcc, 4, v6
	v_addc_co_u32_e32 v7, vcc, 0, v7, vcc
	s_andn2_b64 exec, exec, s[12:13]
	s_cbranch_execnz .LBB2_28
.LBB2_29:
	s_or_b64 exec, exec, s[2:3]
	s_movk_i32 s2, 0xff
	v_cmp_eq_u32_e64 s[2:3], s2, v0
	s_and_saveexec_b64 s[12:13], s[2:3]
	s_cbranch_execz .LBB2_31
; %bb.30:
	s_lshl_b64 s[16:17], s[34:35], 2
	s_add_u32 s8, s8, s16
	v_add_u32_e32 v1, v5, v4
	s_addc_u32 s9, s9, s17
	s_lshl_b64 s[6:7], s[6:7], 2
	v_ashrrev_i32_e32 v2, 31, v1
	s_add_u32 s6, s14, s6
	v_lshlrev_b64 v[2:3], 2, v[1:2]
	s_addc_u32 s7, s15, s7
	v_mov_b32_e32 v4, s7
	v_add_co_u32_e32 v2, vcc, s6, v2
	v_addc_co_u32_e32 v3, vcc, v4, v3, vcc
	v_mov_b32_e32 v4, s25
	v_mov_b32_e32 v6, 0
	v_add_u32_e32 v1, 1, v1
	global_store_dword v[2:3], v4, off
	global_store_dword v6, v1, s[8:9]
.LBB2_31:
	s_or_b64 exec, exec, s[12:13]
	v_cmp_gt_i32_e32 vcc, s33, v0
	v_mov_b32_e32 v3, 0
	v_bfrev_b32_e32 v4, -2
	s_waitcnt vmcnt(0)
	s_barrier
	s_and_saveexec_b64 s[8:9], vcc
	s_cbranch_execz .LBB2_35
; %bb.32:
	s_lshl_b64 s[6:7], s[30:31], 2
	s_add_u32 s6, s22, s6
	s_addc_u32 s7, s23, s7
	v_mov_b32_e32 v2, s7
	v_add_co_u32_e32 v1, vcc, s6, v14
	v_mov_b32_e32 v3, 0
	v_addc_co_u32_e32 v2, vcc, 0, v2, vcc
	v_bfrev_b32_e32 v4, -2
	s_mov_b64 s[12:13], 0
	s_brev_b32 s14, -2
	v_mov_b32_e32 v5, v0
.LBB2_33:                               ; =>This Inner Loop Header: Depth=1
	global_load_dword v6, v[1:2], off
	v_add_co_u32_e32 v1, vcc, 0x400, v1
	v_cmp_eq_u32_e64 s[6:7], s14, v4
	v_add_u32_e32 v7, 1, v5
	v_add_u32_e32 v5, 0x100, v5
	v_addc_co_u32_e32 v2, vcc, 0, v2, vcc
	v_cmp_le_i32_e32 vcc, s33, v5
	s_waitcnt vmcnt(0)
	v_cmp_lt_f32_e64 s[16:17], v3, |v6|
	s_or_b64 s[6:7], s[16:17], s[6:7]
	v_cndmask_b32_e64 v3, v3, |v6|, s[6:7]
	s_or_b64 s[12:13], vcc, s[12:13]
	v_cndmask_b32_e64 v4, v4, v7, s[6:7]
	s_andn2_b64 exec, exec, s[12:13]
	s_cbranch_execnz .LBB2_33
; %bb.34:
	s_or_b64 exec, exec, s[12:13]
.LBB2_35:
	s_or_b64 exec, exec, s[8:9]
	s_cmp_lt_i32 s25, 3
	ds_write_b32 v14, v3 offset:1024
	ds_write_b32 v14, v4
	s_waitcnt lgkmcnt(0)
	s_barrier
	s_cbranch_scc1 .LBB2_70
; %bb.36:
	s_movk_i32 s6, 0x80
	v_or_b32_e32 v1, 0x400, v14
	v_cmp_gt_u32_e32 vcc, s6, v0
	s_and_saveexec_b64 s[8:9], vcc
	s_cbranch_execz .LBB2_42
; %bb.37:
	ds_read_b32 v2, v1 offset:512
	ds_read_b32 v5, v14 offset:512
	s_waitcnt lgkmcnt(1)
	v_cmp_lt_f32_e64 s[12:13], v3, v2
	v_cmp_nlt_f32_e32 vcc, v3, v2
	s_and_saveexec_b64 s[14:15], vcc
	s_cbranch_execz .LBB2_39
; %bb.38:
	v_cmp_eq_f32_e32 vcc, v3, v2
	s_waitcnt lgkmcnt(0)
	v_cmp_gt_i32_e64 s[6:7], v4, v5
	s_and_b64 s[6:7], vcc, s[6:7]
	s_andn2_b64 s[12:13], s[12:13], exec
	s_and_b64 s[6:7], s[6:7], exec
	s_or_b64 s[12:13], s[12:13], s[6:7]
.LBB2_39:
	s_or_b64 exec, exec, s[14:15]
	s_and_saveexec_b64 s[6:7], s[12:13]
	s_cbranch_execz .LBB2_41
; %bb.40:
	s_waitcnt lgkmcnt(0)
	v_mov_b32_e32 v4, v5
	v_mov_b32_e32 v3, v2
	ds_write_b32 v1, v2
	ds_write_b32 v14, v5
.LBB2_41:
	s_or_b64 exec, exec, s[6:7]
.LBB2_42:
	s_or_b64 exec, exec, s[8:9]
	v_cmp_gt_u32_e32 vcc, 64, v0
	s_waitcnt lgkmcnt(0)
	s_barrier
	s_and_saveexec_b64 s[12:13], vcc
	s_cbranch_execz .LBB2_69
; %bb.43:
	ds_read_b32 v2, v1 offset:256
	ds_read_b32 v5, v14 offset:256
	s_waitcnt lgkmcnt(1)
	v_cmp_lt_f32_e64 s[8:9], v3, v2
	v_cmp_nlt_f32_e32 vcc, v3, v2
	s_and_saveexec_b64 s[14:15], vcc
	s_cbranch_execz .LBB2_45
; %bb.44:
	v_cmp_eq_f32_e32 vcc, v3, v2
	s_waitcnt lgkmcnt(0)
	v_cmp_gt_i32_e64 s[6:7], v4, v5
	s_and_b64 s[6:7], vcc, s[6:7]
	s_andn2_b64 s[8:9], s[8:9], exec
	s_and_b64 s[6:7], s[6:7], exec
	s_or_b64 s[8:9], s[8:9], s[6:7]
.LBB2_45:
	s_or_b64 exec, exec, s[14:15]
	s_and_saveexec_b64 s[6:7], s[8:9]
	s_cbranch_execz .LBB2_47
; %bb.46:
	v_mov_b32_e32 v3, v2
	s_waitcnt lgkmcnt(0)
	v_mov_b32_e32 v4, v5
	ds_write_b32 v1, v2
	ds_write_b32 v14, v5
.LBB2_47:
	s_or_b64 exec, exec, s[6:7]
	ds_read_b32 v2, v1 offset:128
	s_waitcnt lgkmcnt(1)
	ds_read_b32 v5, v14 offset:128
	s_waitcnt lgkmcnt(1)
	v_cmp_lt_f32_e64 s[8:9], v3, v2
	v_cmp_nlt_f32_e32 vcc, v3, v2
	s_and_saveexec_b64 s[14:15], vcc
	s_cbranch_execz .LBB2_49
; %bb.48:
	v_cmp_eq_f32_e32 vcc, v3, v2
	s_waitcnt lgkmcnt(0)
	v_cmp_gt_i32_e64 s[6:7], v4, v5
	s_and_b64 s[6:7], vcc, s[6:7]
	s_andn2_b64 s[8:9], s[8:9], exec
	s_and_b64 s[6:7], s[6:7], exec
	s_or_b64 s[8:9], s[8:9], s[6:7]
.LBB2_49:
	s_or_b64 exec, exec, s[14:15]
	s_and_saveexec_b64 s[6:7], s[8:9]
	s_cbranch_execz .LBB2_51
; %bb.50:
	v_mov_b32_e32 v3, v2
	s_waitcnt lgkmcnt(0)
	v_mov_b32_e32 v4, v5
	ds_write_b32 v1, v2
	ds_write_b32 v14, v5
.LBB2_51:
	s_or_b64 exec, exec, s[6:7]
	ds_read_b32 v2, v1 offset:64
	s_waitcnt lgkmcnt(1)
	;; [unrolled: 28-line block ×6, first 2 shown]
	ds_read_b32 v5, v14 offset:4
	s_waitcnt lgkmcnt(1)
	v_cmp_eq_f32_e64 s[6:7], v3, v2
	s_waitcnt lgkmcnt(0)
	v_cmp_gt_i32_e64 s[8:9], v4, v5
	v_cmp_lt_f32_e32 vcc, v3, v2
	s_and_b64 s[6:7], s[6:7], s[8:9]
	s_or_b64 s[6:7], vcc, s[6:7]
	s_and_b64 exec, exec, s[6:7]
	s_cbranch_execz .LBB2_69
; %bb.68:
	ds_write_b32 v1, v2
	ds_write_b32 v14, v5
.LBB2_69:
	s_or_b64 exec, exec, s[12:13]
.LBB2_70:
	v_mov_b32_e32 v1, 0
	s_waitcnt lgkmcnt(0)
	s_barrier
	ds_read_b32 v1, v1 offset:1024
	s_load_dwordx4 s[12:15], s[4:5], 0x78
	s_load_dwordx2 s[8:9], s[4:5], 0x88
	v_mov_b32_e32 v2, s39
	s_mov_b64 s[4:5], -1
	s_cmpk_lg_i32 s24, 0xe9
	s_waitcnt lgkmcnt(0)
	v_mul_f32_e32 v1, s39, v1
	v_cmp_gt_f32_e32 vcc, s39, v1
	v_cndmask_b32_e32 v6, v1, v2, vcc
	v_mov_b32_e32 v2, s27
	v_mov_b32_e32 v1, s26
	s_cbranch_scc1 .LBB2_119
; %bb.71:
	s_lshl_b64 s[26:27], s[42:43], 2
	s_add_u32 s4, s28, s26
	s_addc_u32 s5, s29, s27
	s_lshl_b64 s[40:41], s[40:41], 2
	s_add_u32 s42, s4, s40
	s_addc_u32 s43, s5, s41
	;; [unrolled: 3-line block ×4, first 2 shown]
	s_lshl_b32 s10, s25, 1
	s_mul_i32 s4, s10, s34
	s_ashr_i32 s5, s4, 31
	s_lshl_b64 s[16:17], s[4:5], 2
	s_add_u32 s6, s14, s16
	s_addc_u32 s7, s15, s17
	s_add_u32 s18, s8, s16
	s_addc_u32 s19, s9, s17
	s_and_saveexec_b64 s[44:45], s[0:1]
	s_cbranch_execz .LBB2_79
; %bb.72:
	v_mov_b32_e32 v5, 0
	global_load_dword v4, v5, s[42:43]
	global_load_dword v2, v5, s[30:31]
	s_cmp_gt_i32 s25, 1
	s_cselect_b64 s[46:47], -1, 0
	s_cmp_lt_i32 s25, 2
	s_waitcnt vmcnt(0)
	v_sub_f32_e64 v1, v4, |v2|
	v_sub_f32_e32 v7, v4, v1
	v_cmp_le_f32_e32 vcc, v7, v6
	v_cndmask_b32_e64 v3, 0, 1, vcc
	s_cbranch_scc1 .LBB2_75
; %bb.73:
	v_cmp_gt_f32_e64 s[4:5], v7, -v6
	s_and_b64 s[4:5], vcc, s[4:5]
	v_cndmask_b32_e64 v7, v7, -v6, s[4:5]
	s_add_u32 s4, s26, s40
	s_addc_u32 s5, s27, s41
	s_add_u32 s4, s28, s4
	s_addc_u32 s5, s29, s5
	;; [unrolled: 2-line block ×3, first 2 shown]
	s_mov_b64 s[50:51], s[22:23]
	s_mov_b32 s11, s33
.LBB2_74:                               ; =>This Inner Loop Header: Depth=1
	global_load_dword v8, v5, s[50:51]
	global_load_dword v9, v5, s[48:49]
	s_add_i32 s11, s11, -1
	s_waitcnt vmcnt(1)
	v_div_scale_f32 v10, s[4:5], v7, v7, v8
	v_div_scale_f32 v11, vcc, v8, v7, v8
	s_waitcnt vmcnt(0)
	v_sub_f32_e32 v9, v9, v1
	v_rcp_f32_e32 v12, v10
	v_fma_f32 v13, -v10, v12, 1.0
	v_fmac_f32_e32 v12, v13, v12
	v_mul_f32_e32 v13, v11, v12
	v_fma_f32 v14, -v10, v13, v11
	v_fmac_f32_e32 v13, v14, v12
	v_fma_f32 v10, -v10, v13, v11
	v_div_fmas_f32 v10, v10, v12, v13
	v_div_fixup_f32 v7, v10, v7, v8
	v_sub_f32_e32 v7, v9, v7
	v_cmp_le_f32_e32 vcc, v7, v6
	v_cmp_gt_f32_e64 s[52:53], v7, -v6
	v_addc_co_u32_e64 v3, s[4:5], 0, v3, vcc
	s_and_b64 s[4:5], vcc, s[52:53]
	s_add_u32 s48, s48, 4
	s_addc_u32 s49, s49, 0
	s_add_u32 s50, s50, 4
	s_addc_u32 s51, s51, 0
	s_cmp_lg_u32 s11, 0
	v_cndmask_b32_e64 v7, v7, -v6, s[4:5]
	s_cbranch_scc1 .LBB2_74
.LBB2_75:
	v_and_b32_e32 v2, 0x7fffffff, v2
	v_add_f32_e32 v2, v4, v2
	v_sub_f32_e32 v5, v4, v2
	v_cmp_le_f32_e64 s[4:5], v5, v6
	s_andn2_b64 vcc, exec, s[46:47]
	v_cndmask_b32_e64 v4, 0, 1, s[4:5]
	s_cbranch_vccnz .LBB2_78
; %bb.76:
	v_cmp_gt_f32_e64 s[46:47], v5, -v6
	s_and_b64 s[4:5], s[4:5], s[46:47]
	v_cndmask_b32_e64 v7, v5, -v6, s[4:5]
	s_add_u32 s4, s26, s40
	s_addc_u32 s5, s27, s41
	s_add_u32 s4, s28, s4
	s_addc_u32 s5, s29, s5
	;; [unrolled: 2-line block ×3, first 2 shown]
	v_mov_b32_e32 v5, 0
	s_mov_b64 s[48:49], s[22:23]
	s_mov_b32 s11, s33
.LBB2_77:                               ; =>This Inner Loop Header: Depth=1
	global_load_dword v8, v5, s[48:49]
	global_load_dword v9, v5, s[46:47]
	s_add_i32 s11, s11, -1
	s_waitcnt vmcnt(1)
	v_div_scale_f32 v10, s[4:5], v7, v7, v8
	v_div_scale_f32 v11, vcc, v8, v7, v8
	s_waitcnt vmcnt(0)
	v_sub_f32_e32 v9, v9, v2
	v_rcp_f32_e32 v12, v10
	v_fma_f32 v13, -v10, v12, 1.0
	v_fmac_f32_e32 v12, v13, v12
	v_mul_f32_e32 v13, v11, v12
	v_fma_f32 v14, -v10, v13, v11
	v_fmac_f32_e32 v13, v14, v12
	v_fma_f32 v10, -v10, v13, v11
	v_div_fmas_f32 v10, v10, v12, v13
	v_div_fixup_f32 v7, v10, v7, v8
	v_sub_f32_e32 v7, v9, v7
	v_cmp_le_f32_e32 vcc, v7, v6
	v_cmp_gt_f32_e64 s[50:51], v7, -v6
	v_addc_co_u32_e64 v4, s[4:5], 0, v4, vcc
	s_and_b64 s[4:5], vcc, s[50:51]
	s_add_u32 s46, s46, 4
	s_addc_u32 s47, s47, 0
	s_add_u32 s48, s48, 4
	s_addc_u32 s49, s49, 0
	s_cmp_lg_u32 s11, 0
	v_cndmask_b32_e64 v7, v7, -v6, s[4:5]
	s_cbranch_scc1 .LBB2_77
.LBB2_78:
	v_mov_b32_e32 v5, 0
	global_store_dwordx2 v5, v[1:2], s[6:7]
	global_store_dwordx2 v5, v[3:4], s[18:19]
.LBB2_79:
	s_or_b64 exec, exec, s[44:45]
	v_add_u32_e32 v0, 1, v0
	v_cmp_gt_i32_e32 vcc, s33, v0
	s_and_saveexec_b64 s[44:45], vcc
	s_cbranch_execz .LBB2_86
; %bb.80:
	s_add_u32 s4, s26, s40
	s_addc_u32 s5, s27, s41
	s_add_u32 s4, s28, s4
	s_addc_u32 s5, s29, s5
	;; [unrolled: 2-line block ×3, first 2 shown]
	s_mov_b64 s[48:49], 0
	v_mov_b32_e32 v1, 0
	v_mov_b32_e32 v7, s43
	;; [unrolled: 1-line block ×3, first 2 shown]
.LBB2_81:                               ; =>This Loop Header: Depth=1
                                        ;     Child Loop BB2_82 Depth 2
                                        ;     Child Loop BB2_84 Depth 2
	v_lshlrev_b64 v[2:3], 2, v[0:1]
	s_mov_b32 s11, 1
	v_add_co_u32_e32 v4, vcc, s42, v2
	v_addc_co_u32_e32 v5, vcc, v7, v3, vcc
	v_add_co_u32_e32 v10, vcc, s30, v2
	v_addc_co_u32_e32 v11, vcc, v8, v3, vcc
	global_load_dwordx2 v[12:13], v[10:11], off offset:-4
	global_load_dword v3, v[4:5], off
	global_load_dword v9, v1, s[42:43]
	s_mov_b64 s[50:51], s[22:23]
	s_mov_b64 s[52:53], s[46:47]
	s_waitcnt vmcnt(2)
	v_add_f32_e64 v5, |v13|, |v12|
	s_waitcnt vmcnt(1)
	v_sub_f32_e32 v4, v3, v5
	s_waitcnt vmcnt(0)
	v_sub_f32_e32 v10, v9, v4
	v_cmp_le_f32_e32 vcc, v10, v6
	v_cmp_gt_f32_e64 s[4:5], v10, -v6
	s_and_b64 s[4:5], vcc, s[4:5]
	v_cndmask_b32_e64 v2, 0, 1, vcc
	v_cndmask_b32_e64 v10, v10, -v6, s[4:5]
.LBB2_82:                               ;   Parent Loop BB2_81 Depth=1
                                        ; =>  This Inner Loop Header: Depth=2
	global_load_dword v11, v1, s[50:51]
	global_load_dword v12, v1, s[52:53]
	s_add_i32 s11, s11, 1
	s_waitcnt vmcnt(1)
	v_div_scale_f32 v13, s[4:5], v10, v10, v11
	v_div_scale_f32 v14, vcc, v11, v10, v11
	s_waitcnt vmcnt(0)
	v_sub_f32_e32 v12, v12, v4
	v_rcp_f32_e32 v15, v13
	v_fma_f32 v16, -v13, v15, 1.0
	v_fmac_f32_e32 v15, v16, v15
	v_mul_f32_e32 v16, v14, v15
	v_fma_f32 v17, -v13, v16, v14
	v_fmac_f32_e32 v16, v17, v15
	v_fma_f32 v13, -v13, v16, v14
	v_div_fmas_f32 v13, v13, v15, v16
	v_div_fixup_f32 v10, v13, v10, v11
	v_sub_f32_e32 v10, v12, v10
	v_cmp_le_f32_e32 vcc, v10, v6
	v_cmp_gt_f32_e64 s[54:55], v10, -v6
	v_addc_co_u32_e64 v2, s[4:5], 0, v2, vcc
	s_and_b64 s[4:5], vcc, s[54:55]
	s_add_u32 s52, s52, 4
	s_addc_u32 s53, s53, 0
	s_add_u32 s50, s50, 4
	s_addc_u32 s51, s51, 0
	s_cmp_lg_u32 s25, s11
	v_cndmask_b32_e64 v10, v10, -v6, s[4:5]
	s_cbranch_scc1 .LBB2_82
; %bb.83:                               ;   in Loop: Header=BB2_81 Depth=1
	v_add_f32_e32 v5, v3, v5
	v_sub_f32_e32 v9, v9, v5
	v_cmp_le_f32_e32 vcc, v9, v6
	v_cmp_gt_f32_e64 s[4:5], v9, -v6
	s_and_b64 s[4:5], vcc, s[4:5]
	v_cndmask_b32_e64 v3, 0, 1, vcc
	v_cndmask_b32_e64 v9, v9, -v6, s[4:5]
	s_mov_b64 s[50:51], s[22:23]
	s_mov_b64 s[52:53], s[46:47]
	s_mov_b32 s11, s33
.LBB2_84:                               ;   Parent Loop BB2_81 Depth=1
                                        ; =>  This Inner Loop Header: Depth=2
	global_load_dword v10, v1, s[50:51]
	global_load_dword v11, v1, s[52:53]
	s_add_i32 s11, s11, -1
	s_waitcnt vmcnt(1)
	v_div_scale_f32 v12, s[4:5], v9, v9, v10
	v_div_scale_f32 v13, vcc, v10, v9, v10
	s_waitcnt vmcnt(0)
	v_sub_f32_e32 v11, v11, v5
	v_rcp_f32_e32 v14, v12
	v_fma_f32 v15, -v12, v14, 1.0
	v_fmac_f32_e32 v14, v15, v14
	v_mul_f32_e32 v15, v13, v14
	v_fma_f32 v16, -v12, v15, v13
	v_fmac_f32_e32 v15, v16, v14
	v_fma_f32 v12, -v12, v15, v13
	v_div_fmas_f32 v12, v12, v14, v15
	v_div_fixup_f32 v9, v12, v9, v10
	v_sub_f32_e32 v9, v11, v9
	v_cmp_le_f32_e32 vcc, v9, v6
	v_cmp_gt_f32_e64 s[54:55], v9, -v6
	v_addc_co_u32_e64 v3, s[4:5], 0, v3, vcc
	s_and_b64 s[4:5], vcc, s[54:55]
	s_add_u32 s52, s52, 4
	s_addc_u32 s53, s53, 0
	s_add_u32 s50, s50, 4
	s_addc_u32 s51, s51, 0
	s_cmp_lg_u32 s11, 0
	v_cndmask_b32_e64 v9, v9, -v6, s[4:5]
	s_cbranch_scc1 .LBB2_84
; %bb.85:                               ;   in Loop: Header=BB2_81 Depth=1
	v_lshlrev_b32_e32 v9, 1, v0
	v_mov_b32_e32 v10, v1
	v_lshlrev_b64 v[9:10], 2, v[9:10]
	v_mov_b32_e32 v12, s7
	v_add_co_u32_e32 v11, vcc, s6, v9
	v_addc_co_u32_e32 v12, vcc, v12, v10, vcc
	v_mov_b32_e32 v13, s19
	v_add_co_u32_e32 v9, vcc, s18, v9
	v_addc_co_u32_e32 v10, vcc, v13, v10, vcc
	v_add_u32_e32 v0, 0x100, v0
	v_cmp_le_i32_e32 vcc, s33, v0
	s_or_b64 s[48:49], vcc, s[48:49]
	global_store_dwordx2 v[11:12], v[4:5], off
	global_store_dwordx2 v[9:10], v[2:3], off
	s_andn2_b64 exec, exec, s[48:49]
	s_cbranch_execnz .LBB2_81
.LBB2_86:
	s_or_b64 exec, exec, s[44:45]
	s_and_saveexec_b64 s[4:5], s[2:3]
	s_cbranch_execz .LBB2_94
; %bb.87:
	s_ashr_i32 s3, s25, 31
	s_mov_b32 s2, s25
	s_lshl_b64 s[2:3], s[2:3], 2
	s_add_u32 s44, s42, s2
	s_addc_u32 s45, s43, s3
	v_mov_b32_e32 v5, 0
	s_add_u32 s2, s30, s2
	s_addc_u32 s3, s31, s3
	global_load_dword v1, v5, s[44:45] offset:-4
	global_load_dword v4, v5, s[2:3] offset:-8
	global_load_dword v3, v5, s[42:43]
	s_cmp_gt_i32 s25, 1
	s_cselect_b64 s[30:31], -1, 0
	s_cmp_lt_i32 s25, 2
	s_waitcnt vmcnt(1)
	v_sub_f32_e64 v0, v1, |v4|
	s_waitcnt vmcnt(0)
	v_sub_f32_e32 v7, v3, v0
	v_cmp_le_f32_e32 vcc, v7, v6
	v_cndmask_b32_e64 v2, 0, 1, vcc
	s_cbranch_scc1 .LBB2_90
; %bb.88:
	v_cmp_gt_f32_e64 s[2:3], v7, -v6
	s_and_b64 s[2:3], vcc, s[2:3]
	v_cndmask_b32_e64 v7, v7, -v6, s[2:3]
	s_add_u32 s2, s26, s40
	s_addc_u32 s3, s27, s41
	s_add_u32 s2, s28, s2
	s_addc_u32 s3, s29, s3
	;; [unrolled: 2-line block ×3, first 2 shown]
	s_mov_b64 s[44:45], s[22:23]
	s_mov_b32 s11, s33
.LBB2_89:                               ; =>This Inner Loop Header: Depth=1
	global_load_dword v8, v5, s[44:45]
	global_load_dword v9, v5, s[42:43]
	s_add_i32 s11, s11, -1
	s_waitcnt vmcnt(1)
	v_div_scale_f32 v10, s[2:3], v7, v7, v8
	v_div_scale_f32 v11, vcc, v8, v7, v8
	s_waitcnt vmcnt(0)
	v_sub_f32_e32 v9, v9, v0
	v_rcp_f32_e32 v12, v10
	v_fma_f32 v13, -v10, v12, 1.0
	v_fmac_f32_e32 v12, v13, v12
	v_mul_f32_e32 v13, v11, v12
	v_fma_f32 v14, -v10, v13, v11
	v_fmac_f32_e32 v13, v14, v12
	v_fma_f32 v10, -v10, v13, v11
	v_div_fmas_f32 v10, v10, v12, v13
	v_div_fixup_f32 v7, v10, v7, v8
	v_sub_f32_e32 v7, v9, v7
	v_cmp_le_f32_e32 vcc, v7, v6
	v_cmp_gt_f32_e64 s[46:47], v7, -v6
	v_addc_co_u32_e64 v2, s[2:3], 0, v2, vcc
	s_and_b64 s[2:3], vcc, s[46:47]
	s_add_u32 s42, s42, 4
	s_addc_u32 s43, s43, 0
	s_add_u32 s44, s44, 4
	s_addc_u32 s45, s45, 0
	s_cmp_lg_u32 s11, 0
	v_cndmask_b32_e64 v7, v7, -v6, s[2:3]
	s_cbranch_scc1 .LBB2_89
.LBB2_90:
	v_and_b32_e32 v4, 0x7fffffff, v4
	v_add_f32_e32 v1, v1, v4
	v_sub_f32_e32 v4, v3, v1
	v_cmp_le_f32_e64 s[2:3], v4, v6
	s_andn2_b64 vcc, exec, s[30:31]
	v_cndmask_b32_e64 v3, 0, 1, s[2:3]
	s_cbranch_vccnz .LBB2_93
; %bb.91:
	v_cmp_gt_f32_e64 s[30:31], v4, -v6
	s_and_b64 s[2:3], s[2:3], s[30:31]
	v_cndmask_b32_e64 v5, v4, -v6, s[2:3]
	s_add_u32 s2, s26, s40
	s_addc_u32 s3, s27, s41
	s_add_u32 s2, s28, s2
	s_addc_u32 s3, s29, s3
	;; [unrolled: 2-line block ×3, first 2 shown]
	v_mov_b32_e32 v4, 0
.LBB2_92:                               ; =>This Inner Loop Header: Depth=1
	global_load_dword v7, v4, s[22:23]
	global_load_dword v8, v4, s[26:27]
	s_add_i32 s33, s33, -1
	s_waitcnt vmcnt(1)
	v_div_scale_f32 v9, s[2:3], v5, v5, v7
	v_div_scale_f32 v10, vcc, v7, v5, v7
	s_waitcnt vmcnt(0)
	v_sub_f32_e32 v8, v8, v1
	v_rcp_f32_e32 v11, v9
	v_fma_f32 v12, -v9, v11, 1.0
	v_fmac_f32_e32 v11, v12, v11
	v_mul_f32_e32 v12, v10, v11
	v_fma_f32 v13, -v9, v12, v10
	v_fmac_f32_e32 v12, v13, v11
	v_fma_f32 v9, -v9, v12, v10
	v_div_fmas_f32 v9, v9, v11, v12
	v_div_fixup_f32 v5, v9, v5, v7
	v_sub_f32_e32 v5, v8, v5
	v_cmp_le_f32_e32 vcc, v5, v6
	v_cmp_gt_f32_e64 s[28:29], v5, -v6
	v_addc_co_u32_e64 v3, s[2:3], 0, v3, vcc
	s_and_b64 s[2:3], vcc, s[28:29]
	s_add_u32 s26, s26, 4
	s_addc_u32 s27, s27, 0
	s_add_u32 s22, s22, 4
	s_addc_u32 s23, s23, 0
	s_cmp_lg_u32 s33, 0
	v_cndmask_b32_e64 v5, v5, -v6, s[2:3]
	s_cbranch_scc1 .LBB2_92
.LBB2_93:
	s_ashr_i32 s11, s10, 31
	s_lshl_b64 s[2:3], s[10:11], 2
	s_add_u32 s22, s6, s2
	s_addc_u32 s23, s7, s3
	v_mov_b32_e32 v4, 0
	s_add_u32 s2, s18, s2
	s_addc_u32 s3, s19, s3
	global_store_dwordx2 v4, v[0:1], s[22:23] offset:-8
	global_store_dwordx2 v4, v[2:3], s[2:3] offset:-8
.LBB2_94:
	s_or_b64 exec, exec, s[4:5]
	s_mov_b64 s[4:5], 0
	s_waitcnt vmcnt(0)
	s_barrier
                                        ; implicit-def: $vgpr2
                                        ; implicit-def: $vgpr1
	s_and_saveexec_b64 s[22:23], s[0:1]
	s_cbranch_execz .LBB2_118
; %bb.95:
	s_cmp_gt_i32 s25, 0
	s_cselect_b64 s[4:5], -1, 0
	s_cmp_lt_i32 s25, 1
	s_mov_b32 s26, 1
	s_cbranch_scc1 .LBB2_103
; %bb.96:
	s_cmp_lg_u64 s[8:9], 0
	s_cselect_b64 s[2:3], -1, 0
	s_add_u32 s11, s14, s16
	s_addc_u32 s15, s15, s17
	s_add_u32 s14, s11, 4
	v_cndmask_b32_e64 v1, 0, 1, s[2:3]
	s_addc_u32 s15, s15, 0
	v_mov_b32_e32 v0, 0
	v_cmp_ne_u32_e64 s[2:3], 1, v1
	s_branch .LBB2_98
.LBB2_97:                               ;   in Loop: Header=BB2_98 Depth=1
	s_add_i32 s26, s26, 1
	s_add_u32 s14, s14, 4
	s_addc_u32 s15, s15, 0
	s_cmp_lg_u32 s26, s10
	s_cbranch_scc0 .LBB2_103
.LBB2_98:                               ; =>This Loop Header: Depth=1
                                        ;     Child Loop BB2_99 Depth 2
	s_ashr_i32 s27, s26, 31
	s_add_i32 s11, s26, -1
	s_lshl_b64 s[28:29], s[26:27], 2
	s_add_u32 s30, s6, s28
	s_addc_u32 s31, s7, s29
	global_load_dword v1, v0, s[30:31] offset:-4
	s_mov_b64 s[42:43], s[14:15]
	s_mov_b32 s27, s26
	s_mov_b32 s40, s11
	s_waitcnt vmcnt(0)
	v_mov_b32_e32 v2, v1
.LBB2_99:                               ;   Parent Loop BB2_98 Depth=1
                                        ; =>  This Inner Loop Header: Depth=2
	global_load_dword v3, v0, s[42:43]
	s_waitcnt vmcnt(0)
	v_cmp_lt_f32_e32 vcc, v3, v2
	s_and_b64 s[44:45], vcc, exec
	s_cselect_b32 s40, s27, s40
	s_add_i32 s27, s27, 1
	s_add_u32 s42, s42, 4
	s_addc_u32 s43, s43, 0
	v_cndmask_b32_e32 v2, v2, v3, vcc
	s_cmp_eq_u32 s10, s27
	s_cbranch_scc0 .LBB2_99
; %bb.100:                              ;   in Loop: Header=BB2_98 Depth=1
	s_cmp_lg_u32 s40, s11
	s_cbranch_scc0 .LBB2_97
; %bb.101:                              ;   in Loop: Header=BB2_98 Depth=1
	s_ashr_i32 s41, s40, 31
	s_lshl_b64 s[40:41], s[40:41], 2
	s_add_u32 s42, s6, s40
	s_addc_u32 s43, s7, s41
	s_and_b64 vcc, exec, s[2:3]
	global_store_dword v0, v1, s[42:43]
	global_store_dword v0, v2, s[30:31] offset:-4
	s_cbranch_vccnz .LBB2_97
; %bb.102:                              ;   in Loop: Header=BB2_98 Depth=1
	s_add_u32 s28, s18, s28
	s_addc_u32 s29, s19, s29
	s_add_u32 s30, s18, s40
	s_addc_u32 s31, s19, s41
	global_load_dword v1, v0, s[28:29] offset:-4
	global_load_dword v2, v0, s[30:31]
	s_waitcnt vmcnt(1)
	global_store_dword v0, v1, s[30:31]
	s_waitcnt vmcnt(1)
	global_store_dword v0, v2, s[28:29] offset:-4
	s_branch .LBB2_97
.LBB2_103:
	s_ashr_i32 s11, s10, 31
	s_lshl_b64 s[2:3], s[10:11], 2
	v_mov_b32_e32 v0, 0
	s_add_u32 s14, s6, s2
	s_addc_u32 s15, s7, s3
	global_load_dword v1, v0, s[6:7]
	global_load_dword v2, v0, s[14:15] offset:-4
	v_cvt_f32_i32_e32 v3, s25
	v_cndmask_b32_e64 v4, 0, 1, s[4:5]
	s_andn2_b64 vcc, exec, s[4:5]
	v_cmp_ne_u32_e64 s[2:3], 1, v4
	s_waitcnt vmcnt(0)
	v_cmp_lt_f32_e64 s[4:5], |v1|, |v2|
	v_cndmask_b32_e64 v4, v1, v2, s[4:5]
	v_mul_f32_e64 v4, s38, |v4|
	v_fma_f32 v1, -v4, v3, v1
	v_fmac_f32_e32 v2, v4, v3
	v_sub_f32_e32 v1, v1, v6
	v_add_f32_e32 v2, v6, v2
	global_store_dword v0, v1, s[6:7]
	global_store_dword v0, v2, s[14:15] offset:-4
	s_cbranch_vccnz .LBB2_109
; %bb.104:
	s_max_i32 s11, s10, 2
	s_add_i32 s11, s11, -1
	s_add_u32 s4, s8, s16
	s_addc_u32 s5, s9, s17
	s_add_u32 s4, s4, 4
	s_addc_u32 s5, s5, 0
	s_mov_b32 s15, 0
	s_branch .LBB2_106
.LBB2_105:                              ;   in Loop: Header=BB2_106 Depth=1
	s_add_i32 s15, s15, 1
	s_add_u32 s4, s4, 4
	s_addc_u32 s5, s5, 0
	s_cmp_eq_u32 s11, s15
	s_cselect_b64 s[18:19], -1, 0
	s_mov_b32 s14, s11
	s_andn2_b64 vcc, exec, s[18:19]
	s_cbranch_vccz .LBB2_108
.LBB2_106:                              ; =>This Inner Loop Header: Depth=1
	global_load_dword v1, v0, s[4:5]
	s_mov_b64 s[18:19], -1
	s_waitcnt vmcnt(0)
	v_cmp_le_i32_e32 vcc, s36, v1
	s_cbranch_vccz .LBB2_105
; %bb.107:                              ;   in Loop: Header=BB2_106 Depth=1
                                        ; implicit-def: $sgpr4_sgpr5
	s_mov_b32 s14, s15
	s_andn2_b64 vcc, exec, s[18:19]
	s_cbranch_vccnz .LBB2_106
.LBB2_108:
	s_mov_b32 s15, 0
	s_branch .LBB2_110
.LBB2_109:
	s_mov_b64 s[14:15], 0
.LBB2_110:
	s_lshl_b64 s[4:5], s[14:15], 2
	s_add_u32 s4, s6, s4
	s_addc_u32 s5, s7, s5
	v_mov_b32_e32 v0, 0
	global_load_dword v1, v0, s[4:5]
	s_and_b64 vcc, exec, s[2:3]
	s_mov_b32 s11, 1
	s_cbranch_vccnz .LBB2_116
; %bb.111:
	s_max_i32 s10, s10, 2
	s_add_i32 s14, s10, -1
	s_add_u32 s2, s8, s16
	s_addc_u32 s3, s9, s17
	s_add_u32 s2, s2, 4
	s_addc_u32 s3, s3, 0
	s_branch .LBB2_113
.LBB2_112:                              ;   in Loop: Header=BB2_113 Depth=1
	s_mov_b32 s8, s11
                                        ; implicit-def: $sgpr2_sgpr3
	s_andn2_b64 vcc, exec, s[4:5]
	s_cbranch_vccz .LBB2_115
.LBB2_113:                              ; =>This Inner Loop Header: Depth=1
	global_load_dword v2, v0, s[2:3]
	s_mov_b64 s[4:5], -1
	s_waitcnt vmcnt(0)
	v_cmp_gt_i32_e32 vcc, s37, v2
	s_cbranch_vccz .LBB2_112
; %bb.114:                              ;   in Loop: Header=BB2_113 Depth=1
	s_add_i32 s11, s11, 1
	s_add_u32 s2, s2, 4
	s_addc_u32 s3, s3, 0
	s_cmp_eq_u32 s10, s11
	s_cselect_b64 s[4:5], -1, 0
	s_mov_b32 s8, s14
	s_andn2_b64 vcc, exec, s[4:5]
	s_cbranch_vccnz .LBB2_113
.LBB2_115:
	s_ashr_i32 s9, s8, 31
	s_branch .LBB2_117
.LBB2_116:
	s_mov_b64 s[8:9], 0
.LBB2_117:
	s_lshl_b64 s[2:3], s[8:9], 2
	s_add_u32 s2, s6, s2
	s_addc_u32 s3, s7, s3
	v_mov_b32_e32 v0, 0
	global_load_dword v2, v0, s[2:3]
	s_mov_b64 s[4:5], exec
.LBB2_118:
	s_or_b64 exec, exec, s[22:23]
.LBB2_119:
	s_and_saveexec_b64 s[2:3], s[4:5]
	s_cbranch_execz .LBB2_122
; %bb.120:
	s_and_b64 exec, exec, s[0:1]
	s_cbranch_execz .LBB2_122
; %bb.121:
	s_lshl_b64 s[0:1], s[34:35], 2
	s_add_u32 s0, s20, s0
	s_addc_u32 s1, s21, s1
	s_lshl_b32 s2, s34, 1
	s_ashr_i32 s3, s2, 31
	s_lshl_b64 s[2:3], s[2:3], 2
	s_add_u32 s2, s12, s2
	s_addc_u32 s3, s13, s3
	s_cmpk_eq_i32 s24, 0xe7
	v_mov_b32_e32 v0, 0
	s_cselect_b64 s[4:5], -1, 0
	s_waitcnt vmcnt(0)
	v_cndmask_b32_e64 v2, v2, 0, s[4:5]
	v_cndmask_b32_e64 v1, v1, 0, s[4:5]
	global_store_dword v0, v6, s[0:1]
	global_store_dwordx2 v0, v[1:2], s[2:3]
.LBB2_122:
	s_endpgm
	.section	.rodata,"a",@progbits
	.p2align	6, 0x0
	.amdhsa_kernel _ZN9rocsolver6v33100L22stebz_splitting_kernelIfPfEEv15rocblas_erange_iT_S4_iiT0_iiS5_iiPiPS4_lS6_lS6_S7_S7_S7_S7_S6_S4_S4_
		.amdhsa_group_segment_fixed_size 2048
		.amdhsa_private_segment_fixed_size 0
		.amdhsa_kernarg_size 152
		.amdhsa_user_sgpr_count 6
		.amdhsa_user_sgpr_private_segment_buffer 1
		.amdhsa_user_sgpr_dispatch_ptr 0
		.amdhsa_user_sgpr_queue_ptr 0
		.amdhsa_user_sgpr_kernarg_segment_ptr 1
		.amdhsa_user_sgpr_dispatch_id 0
		.amdhsa_user_sgpr_flat_scratch_init 0
		.amdhsa_user_sgpr_private_segment_size 0
		.amdhsa_uses_dynamic_stack 0
		.amdhsa_system_sgpr_private_segment_wavefront_offset 0
		.amdhsa_system_sgpr_workgroup_id_x 1
		.amdhsa_system_sgpr_workgroup_id_y 1
		.amdhsa_system_sgpr_workgroup_id_z 0
		.amdhsa_system_sgpr_workgroup_info 0
		.amdhsa_system_vgpr_workitem_id 0
		.amdhsa_next_free_vgpr 21
		.amdhsa_next_free_sgpr 56
		.amdhsa_reserve_vcc 1
		.amdhsa_reserve_flat_scratch 0
		.amdhsa_float_round_mode_32 0
		.amdhsa_float_round_mode_16_64 0
		.amdhsa_float_denorm_mode_32 3
		.amdhsa_float_denorm_mode_16_64 3
		.amdhsa_dx10_clamp 1
		.amdhsa_ieee_mode 1
		.amdhsa_fp16_overflow 0
		.amdhsa_exception_fp_ieee_invalid_op 0
		.amdhsa_exception_fp_denorm_src 0
		.amdhsa_exception_fp_ieee_div_zero 0
		.amdhsa_exception_fp_ieee_overflow 0
		.amdhsa_exception_fp_ieee_underflow 0
		.amdhsa_exception_fp_ieee_inexact 0
		.amdhsa_exception_int_div_zero 0
	.end_amdhsa_kernel
	.section	.text._ZN9rocsolver6v33100L22stebz_splitting_kernelIfPfEEv15rocblas_erange_iT_S4_iiT0_iiS5_iiPiPS4_lS6_lS6_S7_S7_S7_S7_S6_S4_S4_,"axG",@progbits,_ZN9rocsolver6v33100L22stebz_splitting_kernelIfPfEEv15rocblas_erange_iT_S4_iiT0_iiS5_iiPiPS4_lS6_lS6_S7_S7_S7_S7_S6_S4_S4_,comdat
.Lfunc_end2:
	.size	_ZN9rocsolver6v33100L22stebz_splitting_kernelIfPfEEv15rocblas_erange_iT_S4_iiT0_iiS5_iiPiPS4_lS6_lS6_S7_S7_S7_S7_S6_S4_S4_, .Lfunc_end2-_ZN9rocsolver6v33100L22stebz_splitting_kernelIfPfEEv15rocblas_erange_iT_S4_iiT0_iiS5_iiPiPS4_lS6_lS6_S7_S7_S7_S7_S6_S4_S4_
                                        ; -- End function
	.set _ZN9rocsolver6v33100L22stebz_splitting_kernelIfPfEEv15rocblas_erange_iT_S4_iiT0_iiS5_iiPiPS4_lS6_lS6_S7_S7_S7_S7_S6_S4_S4_.num_vgpr, 21
	.set _ZN9rocsolver6v33100L22stebz_splitting_kernelIfPfEEv15rocblas_erange_iT_S4_iiT0_iiS5_iiPiPS4_lS6_lS6_S7_S7_S7_S7_S6_S4_S4_.num_agpr, 0
	.set _ZN9rocsolver6v33100L22stebz_splitting_kernelIfPfEEv15rocblas_erange_iT_S4_iiT0_iiS5_iiPiPS4_lS6_lS6_S7_S7_S7_S7_S6_S4_S4_.numbered_sgpr, 56
	.set _ZN9rocsolver6v33100L22stebz_splitting_kernelIfPfEEv15rocblas_erange_iT_S4_iiT0_iiS5_iiPiPS4_lS6_lS6_S7_S7_S7_S7_S6_S4_S4_.num_named_barrier, 0
	.set _ZN9rocsolver6v33100L22stebz_splitting_kernelIfPfEEv15rocblas_erange_iT_S4_iiT0_iiS5_iiPiPS4_lS6_lS6_S7_S7_S7_S7_S6_S4_S4_.private_seg_size, 0
	.set _ZN9rocsolver6v33100L22stebz_splitting_kernelIfPfEEv15rocblas_erange_iT_S4_iiT0_iiS5_iiPiPS4_lS6_lS6_S7_S7_S7_S7_S6_S4_S4_.uses_vcc, 1
	.set _ZN9rocsolver6v33100L22stebz_splitting_kernelIfPfEEv15rocblas_erange_iT_S4_iiT0_iiS5_iiPiPS4_lS6_lS6_S7_S7_S7_S7_S6_S4_S4_.uses_flat_scratch, 0
	.set _ZN9rocsolver6v33100L22stebz_splitting_kernelIfPfEEv15rocblas_erange_iT_S4_iiT0_iiS5_iiPiPS4_lS6_lS6_S7_S7_S7_S7_S6_S4_S4_.has_dyn_sized_stack, 0
	.set _ZN9rocsolver6v33100L22stebz_splitting_kernelIfPfEEv15rocblas_erange_iT_S4_iiT0_iiS5_iiPiPS4_lS6_lS6_S7_S7_S7_S7_S6_S4_S4_.has_recursion, 0
	.set _ZN9rocsolver6v33100L22stebz_splitting_kernelIfPfEEv15rocblas_erange_iT_S4_iiT0_iiS5_iiPiPS4_lS6_lS6_S7_S7_S7_S7_S6_S4_S4_.has_indirect_call, 0
	.section	.AMDGPU.csdata,"",@progbits
; Kernel info:
; codeLenInByte = 5408
; TotalNumSgprs: 60
; NumVgprs: 21
; ScratchSize: 0
; MemoryBound: 0
; FloatMode: 240
; IeeeMode: 1
; LDSByteSize: 2048 bytes/workgroup (compile time only)
; SGPRBlocks: 7
; VGPRBlocks: 5
; NumSGPRsForWavesPerEU: 60
; NumVGPRsForWavesPerEU: 21
; Occupancy: 10
; WaveLimiterHint : 1
; COMPUTE_PGM_RSRC2:SCRATCH_EN: 0
; COMPUTE_PGM_RSRC2:USER_SGPR: 6
; COMPUTE_PGM_RSRC2:TRAP_HANDLER: 0
; COMPUTE_PGM_RSRC2:TGID_X_EN: 1
; COMPUTE_PGM_RSRC2:TGID_Y_EN: 1
; COMPUTE_PGM_RSRC2:TGID_Z_EN: 0
; COMPUTE_PGM_RSRC2:TIDIG_COMP_CNT: 0
	.section	.text._ZN9rocsolver6v33100L22stebz_bisection_kernelIfPfEEv15rocblas_erange_iT_T0_iiS5_iiPiPS4_lS6_lS6_lS6_S6_S7_S7_S7_S7_S6_S4_S4_,"axG",@progbits,_ZN9rocsolver6v33100L22stebz_bisection_kernelIfPfEEv15rocblas_erange_iT_T0_iiS5_iiPiPS4_lS6_lS6_lS6_S6_S7_S7_S7_S7_S6_S4_S4_,comdat
	.globl	_ZN9rocsolver6v33100L22stebz_bisection_kernelIfPfEEv15rocblas_erange_iT_T0_iiS5_iiPiPS4_lS6_lS6_lS6_S6_S7_S7_S7_S7_S6_S4_S4_ ; -- Begin function _ZN9rocsolver6v33100L22stebz_bisection_kernelIfPfEEv15rocblas_erange_iT_T0_iiS5_iiPiPS4_lS6_lS6_lS6_S6_S7_S7_S7_S7_S6_S4_S4_
	.p2align	8
	.type	_ZN9rocsolver6v33100L22stebz_bisection_kernelIfPfEEv15rocblas_erange_iT_T0_iiS5_iiPiPS4_lS6_lS6_lS6_S6_S7_S7_S7_S7_S6_S4_S4_,@function
_ZN9rocsolver6v33100L22stebz_bisection_kernelIfPfEEv15rocblas_erange_iT_T0_iiS5_iiPiPS4_lS6_lS6_lS6_S6_S7_S7_S7_S7_S6_S4_S4_: ; @_ZN9rocsolver6v33100L22stebz_bisection_kernelIfPfEEv15rocblas_erange_iT_T0_iiS5_iiPiPS4_lS6_lS6_lS6_S6_S7_S7_S7_S7_S6_S4_S4_
; %bb.0:
	s_load_dwordx16 s[8:23], s[4:5], 0x30
	s_mov_b32 s48, s7
	s_ashr_i32 s49, s7, 31
	s_lshl_b64 s[50:51], s[48:49], 2
	s_waitcnt lgkmcnt(0)
	s_add_u32 s0, s8, s50
	s_addc_u32 s1, s9, s51
	s_load_dword s33, s[0:1], 0x0
	s_waitcnt lgkmcnt(0)
	s_cmp_ge_i32 s6, s33
	s_cbranch_scc1 .LBB3_85
; %bb.1:
	s_load_dwordx8 s[24:31], s[4:5], 0x0
	s_load_dwordx4 s[44:47], s[4:5], 0x20
	s_load_dwordx8 s[36:43], s[4:5], 0x70
	s_load_dwordx4 s[0:3], s[4:5], 0x90
	s_waitcnt lgkmcnt(0)
	s_load_dword s27, s[4:5], 0xa0
	s_mul_hi_i32 s9, s31, s48
	s_mul_i32 s8, s31, s48
                                        ; kill: killed $sgpr4_sgpr5
	s_ashr_i32 s5, s30, 31
	s_lshl_b64 s[8:9], s[8:9], 2
	s_mov_b32 s4, s30
	s_add_u32 s7, s28, s8
	s_addc_u32 s34, s29, s9
	s_lshl_b64 s[30:31], s[4:5], 2
	s_add_u32 s52, s7, s30
	s_addc_u32 s53, s34, s31
	s_mul_hi_i32 s35, s47, s48
	s_mul_i32 s34, s47, s48
	s_ashr_i32 s5, s46, 31
	s_lshl_b64 s[34:35], s[34:35], 2
	s_mov_b32 s4, s46
	s_add_u32 s7, s44, s34
	s_addc_u32 s55, s45, s35
	s_lshl_b64 s[46:47], s[4:5], 2
	s_add_u32 s54, s7, s46
	s_mul_i32 s4, s12, s49
	s_mul_hi_u32 s5, s12, s48
	s_addc_u32 s55, s55, s47
	s_add_i32 s4, s5, s4
	s_mul_i32 s5, s13, s48
	s_add_i32 s5, s4, s5
	s_mul_i32 s4, s12, s48
	s_lshl_b64 s[4:5], s[4:5], 2
	s_add_u32 s56, s10, s4
	s_addc_u32 s57, s11, s5
	s_mul_i32 s4, s16, s49
	s_mul_hi_u32 s5, s16, s48
	s_add_i32 s4, s5, s4
	s_mul_i32 s5, s17, s48
	s_add_i32 s5, s4, s5
	s_mul_i32 s4, s16, s48
	s_lshl_b64 s[4:5], s[4:5], 2
	s_add_u32 s58, s14, s4
	s_addc_u32 s59, s15, s5
	s_mul_i32 s4, s20, s49
	s_mul_hi_u32 s5, s20, s48
	s_add_i32 s4, s5, s4
	s_mul_i32 s5, s21, s48
	s_add_i32 s5, s4, s5
	s_mul_i32 s4, s20, s48
	s_lshl_b64 s[4:5], s[4:5], 2
	s_add_u32 s49, s18, s4
	s_addc_u32 s60, s19, s5
	s_add_i32 s4, s25, -1
	s_mul_i32 s4, s4, s48
	s_ashr_i32 s5, s4, 31
	s_lshl_b64 s[4:5], s[4:5], 2
	s_add_u32 s61, s40, s4
	s_addc_u32 s62, s41, s5
	s_lshl_b32 s4, s48, 1
	s_ashr_i32 s5, s4, 31
	s_lshl_b64 s[4:5], s[4:5], 2
	s_add_u32 s12, s42, s4
	s_addc_u32 s13, s43, s5
	s_add_u32 s4, s38, s50
	s_addc_u32 s5, s39, s51
	s_load_dword s63, s[4:5], 0x0
	s_add_u32 s14, s22, s50
	s_mul_i32 s4, s25, s48
	s_addc_u32 s15, s23, s51
	s_lshl_b32 s10, s4, 2
	s_ashr_i32 s11, s10, 31
	s_lshl_b64 s[10:11], s[10:11], 2
	s_add_u32 s48, s0, s10
	s_addc_u32 s50, s1, s11
	s_add_u32 s51, s2, s10
	s_addc_u32 s64, s3, s11
	s_ashr_i32 s5, s4, 31
	s_lshl_b64 s[0:1], s[4:5], 2
	s_add_u32 s65, s36, s0
	s_addc_u32 s66, s37, s1
	v_mov_b32_e32 v1, 0x800000
	s_cmpk_lg_i32 s24, 0xe7
	s_waitcnt lgkmcnt(0)
	v_cmp_lt_f32_e32 vcc, s63, v1
	s_cselect_b64 s[16:17], -1, 0
	s_and_b64 s[4:5], vcc, exec
	s_cselect_b32 s4, 32, 0
	v_mov_b32_e32 v2, s4
	v_ldexp_f32 v2, s63, v2
	s_add_u32 s7, s8, s30
	v_log_f32_e32 v2, v2
	s_addc_u32 s8, s9, s31
	s_add_u32 s7, s28, s7
	s_addc_u32 s8, s29, s8
	s_add_u32 s69, s7, 4
	s_mov_b32 s67, 0x3f317217
	v_mul_f32_e32 v3, 0x3f317217, v2
	s_addc_u32 s70, s8, 0
	v_fma_f32 v3, v2, s67, -v3
	s_add_u32 s7, s34, s46
	v_mov_b32_e32 v9, 0x41b17218
	v_fmac_f32_e32 v3, 0x3377d1cf, v2
	s_mov_b32 s68, 0x7f800000
	s_addc_u32 s8, s35, s47
	v_cndmask_b32_e32 v1, 0, v9, vcc
	v_fmac_f32_e32 v3, 0x3f317217, v2
	v_cmp_lt_f32_e64 vcc, |v2|, s68
	s_add_u32 s7, s44, s7
	v_cndmask_b32_e32 v2, v2, v3, vcc
	s_addc_u32 s8, s45, s8
	v_sub_f32_e32 v10, v2, v1
	v_mov_b32_e32 v1, 0x1000
	v_lshlrev_b32_e32 v12, 4, v0
	s_add_u32 s44, s7, 4
	s_mov_b32 s18, 0xfefa39ef
	v_cmp_lt_f32_e64 s[0:1], s26, 0
	v_cmp_eq_u32_e64 s[2:3], 0, v0
	v_cmp_ne_u32_e64 s[4:5], 0, v0
	s_mov_b32 s24, 0x800000
	v_lshl_or_b32 v11, v0, 2, v1
	v_or_b32_e32 v13, 0x800, v12
	v_add_f32_e64 v14, s27, s27
	s_addc_u32 s45, s8, 0
	v_mov_b32_e32 v15, 0
	s_mov_b32 s19, 0x3fe62e42
	v_mov_b32_e32 v16, s63
	v_mov_b32_e32 v17, 1
                                        ; implicit-def: $sgpr46
                                        ; implicit-def: $sgpr47
                                        ; implicit-def: $sgpr71
                                        ; implicit-def: $sgpr72
                                        ; implicit-def: $vgpr18
	s_branch .LBB3_4
.LBB3_2:                                ;   in Loop: Header=BB3_4 Depth=1
	s_or_b64 exec, exec, s[8:9]
	v_mov_b32_e32 v4, v18
	s_mov_b32 s73, s72
	s_mov_b32 s7, s71
	;; [unrolled: 1-line block ×4, first 2 shown]
.LBB3_3:                                ;   in Loop: Header=BB3_4 Depth=1
	s_add_i32 s6, s6, 64
	s_cmp_lt_i32 s6, s33
	s_mov_b32 s46, s23
	s_mov_b32 s47, s74
	;; [unrolled: 1-line block ×4, first 2 shown]
	v_mov_b32_e32 v18, v4
	s_waitcnt vmcnt(0)
	s_barrier
	s_cbranch_scc0 .LBB3_85
.LBB3_4:                                ; =>This Loop Header: Depth=1
                                        ;     Child Loop BB3_9 Depth 2
                                        ;     Child Loop BB3_20 Depth 2
	;; [unrolled: 1-line block ×4, first 2 shown]
                                        ;       Child Loop BB3_37 Depth 3
                                        ;         Child Loop BB3_40 Depth 4
                                        ;         Child Loop BB3_53 Depth 4
                                        ;     Child Loop BB3_69 Depth 2
                                        ;       Child Loop BB3_71 Depth 3
	s_ashr_i32 s7, s6, 31
	s_cmp_eq_u32 s6, 0
	s_mov_b32 s22, 0
	s_cbranch_scc1 .LBB3_6
; %bb.5:                                ;   in Loop: Header=BB3_4 Depth=1
	s_lshl_b64 s[8:9], s[6:7], 2
	s_add_u32 s8, s49, s8
	s_addc_u32 s9, s60, s9
	global_load_dword v1, v15, s[8:9] offset:-4
	s_waitcnt vmcnt(0)
	v_readfirstlane_b32 s22, v1
.LBB3_6:                                ;   in Loop: Header=BB3_4 Depth=1
	s_lshl_b64 s[20:21], s[6:7], 2
	s_add_u32 s8, s49, s20
	s_addc_u32 s9, s60, s21
	global_load_dword v1, v15, s[8:9]
	s_waitcnt vmcnt(0)
	v_readfirstlane_b32 s74, v1
	s_sub_i32 s10, s74, s22
	s_cmp_lg_u32 s10, 1
	s_cbranch_scc0 .LBB3_63
; %bb.7:                                ;   in Loop: Header=BB3_4 Depth=1
	s_ashr_i32 s23, s22, 31
	s_lshl_b64 s[30:31], s[22:23], 2
	s_add_u32 s28, s52, s30
	s_addc_u32 s29, s53, s31
	s_add_u32 s8, s54, s30
	s_addc_u32 s9, s55, s31
	global_load_dword v1, v15, s[8:9]
	global_load_dword v6, v15, s[28:29]
	s_cmp_lt_i32 s10, 3
	s_waitcnt vmcnt(1)
	v_and_b32_e32 v3, 0x7fffffff, v1
	s_waitcnt vmcnt(0)
	v_sub_f32_e64 v2, v6, |v1|
	v_add_f32_e64 v1, v6, |v1|
	s_cbranch_scc1 .LBB3_10
; %bb.8:                                ;   in Loop: Header=BB3_4 Depth=1
	s_add_i32 s7, s10, -2
	s_add_u32 s8, s69, s30
	s_addc_u32 s9, s70, s31
	s_add_u32 s34, s44, s30
	s_addc_u32 s35, s45, s31
.LBB3_9:                                ;   Parent Loop BB3_4 Depth=1
                                        ; =>  This Inner Loop Header: Depth=2
	global_load_dword v4, v15, s[8:9]
	global_load_dword v5, v15, s[34:35]
	v_mov_b32_e32 v7, v3
	s_add_i32 s7, s7, -1
	s_add_u32 s8, s8, 4
	s_addc_u32 s9, s9, 0
	s_add_u32 s34, s34, 4
	s_addc_u32 s35, s35, 0
	s_cmp_lg_u32 s7, 0
	s_waitcnt vmcnt(1)
	v_sub_f32_e32 v8, v4, v7
	v_add_f32_e32 v4, v7, v4
	s_waitcnt vmcnt(0)
	v_sub_f32_e64 v7, v8, |v5|
	v_add_f32_e64 v4, v4, |v5|
	v_cmp_lt_f32_e32 vcc, v7, v2
	v_cndmask_b32_e32 v2, v2, v7, vcc
	v_cmp_lt_f32_e32 vcc, v1, v4
	v_and_b32_e32 v3, 0x7fffffff, v5
	v_cndmask_b32_e32 v1, v1, v4, vcc
	s_cbranch_scc1 .LBB3_9
.LBB3_10:                               ;   in Loop: Header=BB3_4 Depth=1
	s_ashr_i32 s11, s10, 31
	s_lshl_b64 s[8:9], s[10:11], 2
	s_add_u32 s8, s28, s8
	s_addc_u32 s9, s29, s9
	global_load_dword v4, v15, s[8:9] offset:-4
	v_cvt_f32_i32_e32 v7, s10
	s_andn2_b64 vcc, exec, s[16:17]
	s_waitcnt vmcnt(0)
	v_sub_f32_e32 v5, v4, v3
	v_add_f32_e32 v3, v3, v4
	v_cmp_lt_f32_e64 s[8:9], v5, v2
	v_cndmask_b32_e64 v2, v2, v5, s[8:9]
	v_cmp_lt_f32_e64 s[8:9], v1, v3
	v_cndmask_b32_e64 v3, v1, v3, s[8:9]
	v_cmp_lt_f32_e64 s[8:9], |v2|, |v3|
	v_cndmask_b32_e64 v1, v2, v3, s[8:9]
	v_mul_f32_e64 v5, s27, |v1|
	v_fma_f32 v1, -v5, v7, v2
	v_fmac_f32_e32 v3, v5, v7
	v_subrev_f32_e32 v1, s63, v1
	v_add_f32_e32 v2, s63, v3
	s_cbranch_vccnz .LBB3_12
; %bb.11:                               ;   in Loop: Header=BB3_4 Depth=1
	global_load_dwordx2 v[3:4], v15, s[12:13]
	s_waitcnt vmcnt(0)
	v_cmp_lt_f32_e32 vcc, v1, v3
	v_cndmask_b32_e32 v1, v1, v3, vcc
	v_cmp_lt_f32_e32 vcc, v4, v2
	v_cndmask_b32_e32 v2, v2, v4, vcc
.LBB3_12:                               ;   in Loop: Header=BB3_4 Depth=1
	v_cmp_nlt_f32_e32 vcc, v1, v2
	s_mov_b64 s[8:9], -1
	s_cbranch_vccz .LBB3_16
; %bb.13:                               ;   in Loop: Header=BB3_4 Depth=1
	s_and_saveexec_b64 s[8:9], s[2:3]
	s_cbranch_execz .LBB3_15
; %bb.14:                               ;   in Loop: Header=BB3_4 Depth=1
	s_add_u32 s34, s65, s20
	s_addc_u32 s35, s66, s21
	ds_write_b16 v15, v15 offset:4612
	global_store_dword v15, v15, s[34:35]
.LBB3_15:                               ;   in Loop: Header=BB3_4 Depth=1
	s_or_b64 exec, exec, s[8:9]
	s_mov_b64 s[8:9], 0
.LBB3_16:                               ;   in Loop: Header=BB3_4 Depth=1
	s_andn2_b64 vcc, exec, s[8:9]
	v_mov_b32_e32 v4, v18
	s_mov_b32 s73, s72
	s_mov_b32 s7, s71
	;; [unrolled: 1-line block ×3, first 2 shown]
	s_cbranch_vccnz .LBB3_29
; %bb.17:                               ;   in Loop: Header=BB3_4 Depth=1
	v_sub_f32_e32 v3, v2, v1
	v_add_f32_e32 v3, s63, v3
	v_cmp_gt_f32_e32 vcc, s24, v3
	s_and_b64 s[8:9], vcc, exec
	s_cselect_b32 s7, 32, 0
	v_ldexp_f32 v3, v3, s7
	v_log_f32_e32 v3, v3
	v_cndmask_b32_e32 v4, 0, v9, vcc
	v_mul_f32_e32 v7, 0x3f317217, v3
	v_fma_f32 v7, v3, s67, -v7
	v_fmac_f32_e32 v7, 0x3377d1cf, v3
	v_fmac_f32_e32 v7, 0x3f317217, v3
	v_cmp_lt_f32_e64 vcc, |v3|, s68
	v_cndmask_b32_e32 v3, v3, v7, vcc
	v_sub_f32_e32 v3, v3, v4
	v_sub_f32_e32 v3, v3, v10
	v_cvt_f64_f32_e32 v[3:4], v3
	v_div_scale_f64 v[7:8], s[8:9], s[18:19], s[18:19], v[3:4]
	v_rcp_f64_e32 v[19:20], v[7:8]
	v_fma_f64 v[21:22], -v[7:8], v[19:20], 1.0
	v_fma_f64 v[19:20], v[19:20], v[21:22], v[19:20]
	v_div_scale_f64 v[21:22], vcc, v[3:4], s[18:19], v[3:4]
	v_fma_f64 v[23:24], -v[7:8], v[19:20], 1.0
	v_fma_f64 v[19:20], v[19:20], v[23:24], v[19:20]
	v_mul_f64 v[23:24], v[21:22], v[19:20]
	v_fma_f64 v[7:8], -v[7:8], v[23:24], v[21:22]
	v_div_fmas_f64 v[7:8], v[7:8], v[19:20], v[23:24]
	v_div_fixup_f64 v[3:4], v[7:8], s[18:19], v[3:4]
	v_cvt_i32_f64_e32 v3, v[3:4]
	v_mov_b32_e32 v4, v18
	v_readfirstlane_b32 s7, v3
	s_and_saveexec_b64 s[34:35], s[2:3]
	s_cbranch_execz .LBB3_28
; %bb.18:                               ;   in Loop: Header=BB3_4 Depth=1
	s_add_u32 s36, s61, s30
	s_addc_u32 s37, s62, s31
	v_sub_f32_e32 v4, v6, v1
	s_cmp_gt_i32 s10, 1
	v_cmp_ge_f32_e32 vcc, s63, v4
	s_cselect_b64 s[38:39], -1, 0
	s_cmp_lt_i32 s10, 2
	v_cndmask_b32_e64 v3, 0, 1, vcc
	ds_write_b8 v15, v15 offset:4613
	s_cbranch_scc1 .LBB3_21
; %bb.19:                               ;   in Loop: Header=BB3_4 Depth=1
	v_cmp_gt_f32_e64 s[8:9], v4, -s63
	v_mov_b32_e32 v7, s63
	s_and_b64 s[8:9], vcc, s[8:9]
	v_cndmask_b32_e64 v4, v4, -v7, s[8:9]
	s_not_b32 s8, s22
	s_add_i32 s11, s8, s74
	s_add_u32 s40, s69, s30
	s_addc_u32 s41, s70, s31
	s_mov_b64 s[42:43], s[36:37]
.LBB3_20:                               ;   Parent Loop BB3_4 Depth=1
                                        ; =>  This Inner Loop Header: Depth=2
	global_load_dword v7, v15, s[42:43]
	global_load_dword v8, v15, s[40:41]
	s_add_i32 s11, s11, -1
	s_waitcnt vmcnt(1)
	v_div_scale_f32 v19, s[8:9], v4, v4, v7
	v_div_scale_f32 v20, vcc, v7, v4, v7
	s_waitcnt vmcnt(0)
	v_sub_f32_e32 v8, v8, v1
	v_rcp_f32_e32 v21, v19
	v_fma_f32 v22, -v19, v21, 1.0
	v_fmac_f32_e32 v21, v22, v21
	v_mul_f32_e32 v22, v20, v21
	v_fma_f32 v23, -v19, v22, v20
	v_fmac_f32_e32 v22, v23, v21
	v_fma_f32 v19, -v19, v22, v20
	v_div_fmas_f32 v19, v19, v21, v22
	v_div_fixup_f32 v4, v19, v4, v7
	v_sub_f32_e32 v4, v8, v4
	v_cmp_ge_f32_e32 vcc, s63, v4
	v_cmp_gt_f32_e64 s[76:77], v4, -s63
	v_addc_co_u32_e64 v3, s[8:9], 0, v3, vcc
	s_and_b64 s[8:9], vcc, s[76:77]
	s_add_u32 s40, s40, 4
	s_addc_u32 s41, s41, 0
	s_add_u32 s42, s42, 4
	s_addc_u32 s43, s43, 0
	s_cmp_lg_u32 s11, 0
	v_cndmask_b32_e64 v4, v4, -v16, s[8:9]
	s_cbranch_scc1 .LBB3_20
.LBB3_21:                               ;   in Loop: Header=BB3_4 Depth=1
	v_sub_f32_e32 v6, v6, v2
	v_cmp_ge_f32_e64 s[8:9], s63, v6
	s_andn2_b64 vcc, exec, s[38:39]
	v_cndmask_b32_e64 v4, 0, 1, s[8:9]
	s_cbranch_vccnz .LBB3_24
; %bb.22:                               ;   in Loop: Header=BB3_4 Depth=1
	v_cmp_gt_f32_e64 s[38:39], v6, -s63
	s_and_b64 s[8:9], s[8:9], s[38:39]
	v_cndmask_b32_e64 v6, v6, -v16, s[8:9]
	s_not_b32 s8, s22
	s_add_i32 s11, s8, s74
	s_add_u32 s38, s69, s30
	s_addc_u32 s39, s70, s31
.LBB3_23:                               ;   Parent Loop BB3_4 Depth=1
                                        ; =>  This Inner Loop Header: Depth=2
	global_load_dword v7, v15, s[36:37]
	global_load_dword v8, v15, s[38:39]
	s_add_i32 s11, s11, -1
	s_waitcnt vmcnt(1)
	v_div_scale_f32 v19, s[8:9], v6, v6, v7
	v_div_scale_f32 v20, vcc, v7, v6, v7
	s_waitcnt vmcnt(0)
	v_sub_f32_e32 v8, v8, v2
	v_rcp_f32_e32 v21, v19
	v_fma_f32 v22, -v19, v21, 1.0
	v_fmac_f32_e32 v21, v22, v21
	v_mul_f32_e32 v22, v20, v21
	v_fma_f32 v23, -v19, v22, v20
	v_fmac_f32_e32 v22, v23, v21
	v_fma_f32 v19, -v19, v22, v20
	v_div_fmas_f32 v19, v19, v21, v22
	v_div_fixup_f32 v6, v19, v6, v7
	v_sub_f32_e32 v6, v8, v6
	v_cmp_ge_f32_e32 vcc, s63, v6
	v_cmp_gt_f32_e64 s[40:41], v6, -s63
	v_addc_co_u32_e64 v4, s[8:9], 0, v4, vcc
	s_and_b64 s[8:9], vcc, s[40:41]
	s_add_u32 s38, s38, 4
	s_addc_u32 s39, s39, 0
	s_add_u32 s36, s36, 4
	s_addc_u32 s37, s37, 0
	s_cmp_lg_u32 s11, 0
	v_cndmask_b32_e64 v6, v6, -v16, s[8:9]
	s_cbranch_scc1 .LBB3_23
.LBB3_24:                               ;   in Loop: Header=BB3_4 Depth=1
	v_sub_u32_e32 v6, v4, v3
	v_cmp_gt_i32_e32 vcc, 1, v6
	s_mov_b64 s[8:9], -1
	s_cbranch_vccz .LBB3_26
; %bb.25:                               ;   in Loop: Header=BB3_4 Depth=1
	s_add_u32 s8, s65, s20
	s_addc_u32 s9, s66, s21
	ds_write_b8 v15, v15 offset:4612
	global_store_dword v15, v15, s[8:9]
	s_mov_b64 s[8:9], 0
.LBB3_26:                               ;   in Loop: Header=BB3_4 Depth=1
	s_andn2_b64 vcc, exec, s[8:9]
	s_cbranch_vccnz .LBB3_28
; %bb.27:                               ;   in Loop: Header=BB3_4 Depth=1
	s_add_i32 s8, s22, s25
	s_lshl_b32 s8, s8, 1
	s_ashr_i32 s9, s8, 31
	s_lshl_b64 s[8:9], s[8:9], 2
	s_add_u32 s36, s48, s8
	s_addc_u32 s37, s50, s9
	global_store_dwordx2 v15, v[1:2], s[36:37]
	s_add_u32 s36, s65, s20
	s_addc_u32 s37, s66, s21
	s_add_u32 s8, s51, s8
	s_addc_u32 s9, s64, s9
	ds_write_b8 v15, v17 offset:4612
	global_store_dword v15, v6, s[36:37]
	global_store_dwordx2 v15, v[3:4], s[8:9]
.LBB3_28:                               ;   in Loop: Header=BB3_4 Depth=1
	s_or_b64 exec, exec, s[34:35]
	s_add_i32 s7, s7, 2
	s_mov_b32 s23, 0
	s_mov_b32 s73, 1
.LBB3_29:                               ;   in Loop: Header=BB3_4 Depth=1
	s_waitcnt vmcnt(0) lgkmcnt(0)
	s_barrier
	ds_read_u16 v1, v15 offset:4612
	s_waitcnt lgkmcnt(0)
	v_readfirstlane_b32 s8, v1
	s_bitcmp1_b32 s8, 0
	s_cselect_b64 s[38:39], -1, 0
	s_bitcmp1_b32 s8, 8
	s_cselect_b64 s[8:9], -1, 0
	s_xor_b64 s[34:35], s[8:9], -1
	s_and_b64 s[34:35], s[38:39], s[34:35]
	s_cmp_lt_i32 s23, s7
	s_cselect_b64 s[36:37], -1, 0
	s_and_b64 s[34:35], s[34:35], s[36:37]
	s_andn2_b64 vcc, exec, s[34:35]
	s_cbranch_vccnz .LBB3_64
; %bb.30:                               ;   in Loop: Header=BB3_4 Depth=1
	s_add_i32 s8, s22, s25
	s_lshl_b32 s75, s22, 1
	s_lshl_b32 s76, s8, 1
	s_add_u32 s34, s61, s30
	s_addc_u32 s35, s62, s31
	s_cmp_gt_i32 s10, 1
	v_mov_b32_e32 v1, s26
	s_cselect_b64 s[36:37], -1, 0
	s_not_b32 s77, s22
	v_cndmask_b32_e64 v1, v1, v5, s[0:1]
	s_add_i32 s77, s77, s74
	v_mov_b32_e32 v2, s63
	v_cmp_gt_f32_e32 vcc, s63, v1
	s_add_u32 s30, s69, s30
	v_cndmask_b32_e32 v19, v1, v2, vcc
	s_addc_u32 s31, s70, s31
	s_branch .LBB3_32
.LBB3_31:                               ;   in Loop: Header=BB3_32 Depth=2
	s_or_b64 exec, exec, s[8:9]
	s_waitcnt lgkmcnt(0)
	s_barrier
	ds_read_u16 v1, v15 offset:4612
	s_add_i32 s23, s23, 1
	s_waitcnt lgkmcnt(0)
	v_readfirstlane_b32 s8, v1
	s_bitcmp1_b32 s8, 0
	s_cselect_b64 s[38:39], -1, 0
	s_bitcmp1_b32 s8, 8
	s_cselect_b64 s[8:9], -1, 0
	s_xor_b64 s[10:11], s[8:9], -1
	s_and_b64 s[10:11], s[38:39], s[10:11]
	s_cmp_lt_i32 s23, s7
	s_cselect_b64 s[40:41], -1, 0
	s_and_b64 s[10:11], s[10:11], s[40:41]
	s_and_b64 vcc, exec, s[10:11]
	s_cbranch_vccz .LBB3_65
.LBB3_32:                               ;   Parent Loop BB3_4 Depth=1
                                        ; =>  This Loop Header: Depth=2
                                        ;       Child Loop BB3_37 Depth 3
                                        ;         Child Loop BB3_40 Depth 4
                                        ;         Child Loop BB3_53 Depth 4
	s_and_saveexec_b64 s[8:9], s[2:3]
; %bb.33:                               ;   in Loop: Header=BB3_32 Depth=2
	ds_write_b32 v15, v15 offset:4608
; %bb.34:                               ;   in Loop: Header=BB3_32 Depth=2
	s_or_b64 exec, exec, s[8:9]
	s_bitcmp0_b32 s23, 0
	s_cselect_b64 s[8:9], -1, 0
	s_and_b64 s[10:11], s[8:9], exec
	s_cselect_b32 s74, s75, s76
	s_cmp_lt_i32 s73, 1
	s_cbranch_scc1 .LBB3_60
; %bb.35:                               ;   in Loop: Header=BB3_32 Depth=2
	s_and_b64 s[8:9], s[8:9], exec
	s_cselect_b32 s78, s76, s75
	s_mov_b32 s79, 0
	s_branch .LBB3_37
.LBB3_36:                               ;   in Loop: Header=BB3_37 Depth=3
	s_or_b64 exec, exec, s[8:9]
	s_addk_i32 s79, 0x80
	s_cmp_ge_i32 s79, s73
	s_waitcnt lgkmcnt(0)
	s_barrier
	s_cbranch_scc1 .LBB3_60
.LBB3_37:                               ;   Parent Loop BB3_4 Depth=1
                                        ;     Parent Loop BB3_32 Depth=2
                                        ; =>    This Loop Header: Depth=3
                                        ;         Child Loop BB3_40 Depth 4
                                        ;         Child Loop BB3_53 Depth 4
	v_add_u32_e32 v1, s79, v0
	v_cmp_gt_i32_e64 s[8:9], s73, v1
	s_and_saveexec_b64 s[38:39], s[8:9]
	s_cbranch_execz .LBB3_50
; %bb.38:                               ;   in Loop: Header=BB3_37 Depth=3
	v_lshl_add_u32 v1, v1, 1, s78
	v_ashrrev_i32_e32 v2, 31, v1
	v_lshlrev_b64 v[3:4], 2, v[1:2]
	v_mov_b32_e32 v2, s50
	v_add_co_u32_e32 v1, vcc, s48, v3
	v_addc_co_u32_e32 v2, vcc, v2, v4, vcc
	global_load_dwordx2 v[7:8], v[1:2], off
	v_mov_b32_e32 v1, s64
	global_load_dword v2, v15, s[28:29]
	v_add_co_u32_e32 v3, vcc, s51, v3
	v_addc_co_u32_e32 v4, vcc, v1, v4, vcc
	global_load_dwordx2 v[3:4], v[3:4], off
	s_andn2_b64 vcc, exec, s[36:37]
	s_waitcnt vmcnt(2)
	v_add_f32_e32 v1, v7, v8
	v_mul_f32_e32 v6, 0.5, v1
	s_waitcnt vmcnt(1)
	v_fmac_f32_e32 v2, -0.5, v1
	v_cmp_ge_f32_e64 s[10:11], s63, v2
	v_cndmask_b32_e64 v1, 0, 1, s[10:11]
	s_cbranch_vccnz .LBB3_41
; %bb.39:                               ;   in Loop: Header=BB3_37 Depth=3
	v_cmp_gt_f32_e64 s[40:41], v2, -s63
	v_mov_b32_e32 v5, s63
	s_and_b64 s[10:11], s[10:11], s[40:41]
	v_cndmask_b32_e64 v2, v2, -v5, s[10:11]
	s_mov_b64 s[40:41], s[34:35]
	s_mov_b64 s[42:43], s[30:31]
	s_mov_b32 s80, s77
.LBB3_40:                               ;   Parent Loop BB3_4 Depth=1
                                        ;     Parent Loop BB3_32 Depth=2
                                        ;       Parent Loop BB3_37 Depth=3
                                        ; =>      This Inner Loop Header: Depth=4
	global_load_dword v5, v15, s[40:41]
	global_load_dword v20, v15, s[42:43]
	s_add_i32 s80, s80, -1
	s_waitcnt vmcnt(1)
	v_div_scale_f32 v21, s[10:11], v2, v2, v5
	v_div_scale_f32 v22, vcc, v5, v2, v5
	s_waitcnt vmcnt(0)
	v_sub_f32_e32 v20, v20, v6
	v_rcp_f32_e32 v23, v21
	v_fma_f32 v24, -v21, v23, 1.0
	v_fmac_f32_e32 v23, v24, v23
	v_mul_f32_e32 v24, v22, v23
	v_fma_f32 v25, -v21, v24, v22
	v_fmac_f32_e32 v24, v25, v23
	v_fma_f32 v21, -v21, v24, v22
	v_div_fmas_f32 v21, v21, v23, v24
	v_mov_b32_e32 v22, s63
	v_div_fixup_f32 v2, v21, v2, v5
	v_sub_f32_e32 v2, v20, v2
	v_cmp_ge_f32_e32 vcc, s63, v2
	v_cmp_gt_f32_e64 s[82:83], v2, -s63
	v_addc_co_u32_e64 v1, s[10:11], 0, v1, vcc
	s_and_b64 s[10:11], vcc, s[82:83]
	s_add_u32 s42, s42, 4
	s_addc_u32 s43, s43, 0
	s_add_u32 s40, s40, 4
	s_addc_u32 s41, s41, 0
	s_cmp_lg_u32 s80, 0
	v_cndmask_b32_e64 v2, v2, -v22, s[10:11]
	s_cbranch_scc1 .LBB3_40
.LBB3_41:                               ;   in Loop: Header=BB3_37 Depth=3
	s_waitcnt vmcnt(0)
	v_max_i32_e32 v1, v1, v3
	v_min_i32_e32 v2, v1, v4
	v_cmp_ne_u32_e32 vcc, v2, v3
	s_and_saveexec_b64 s[10:11], vcc
	s_xor_b64 s[10:11], exec, s[10:11]
	s_cbranch_execz .LBB3_47
; %bb.42:                               ;   in Loop: Header=BB3_37 Depth=3
	v_cmp_le_i32_e32 vcc, v4, v1
	s_and_saveexec_b64 s[40:41], vcc
	s_xor_b64 s[40:41], exec, s[40:41]
	s_cbranch_execz .LBB3_44
; %bb.43:                               ;   in Loop: Header=BB3_37 Depth=3
	v_mov_b32_e32 v8, v6
	v_mov_b32_e32 v1, v3
	ds_write_b32 v11, v15
	ds_write_b64 v12, v[7:8]
	ds_write_b64 v13, v[1:2]
                                        ; implicit-def: $vgpr7_vgpr8
.LBB3_44:                               ;   in Loop: Header=BB3_37 Depth=3
	s_andn2_saveexec_b64 s[40:41], s[40:41]
	s_cbranch_execz .LBB3_46
; %bb.45:                               ;   in Loop: Header=BB3_37 Depth=3
	v_mov_b32_e32 v5, v7
	v_mov_b32_e32 v7, v6
	;; [unrolled: 1-line block ×4, first 2 shown]
	ds_write_b32 v11, v17
	ds_write_b128 v12, v[5:8]
	ds_write_b128 v13, v[1:4]
.LBB3_46:                               ;   in Loop: Header=BB3_37 Depth=3
	s_or_b64 exec, exec, s[40:41]
                                        ; implicit-def: $vgpr6
.LBB3_47:                               ;   in Loop: Header=BB3_37 Depth=3
	s_andn2_saveexec_b64 s[10:11], s[10:11]
	s_cbranch_execz .LBB3_49
; %bb.48:                               ;   in Loop: Header=BB3_37 Depth=3
	v_mov_b32_e32 v7, v8
	ds_write_b32 v11, v15
	ds_write_b64 v12, v[6:7]
	ds_write_b64 v13, v[3:4]
.LBB3_49:                               ;   in Loop: Header=BB3_37 Depth=3
	s_or_b64 exec, exec, s[10:11]
.LBB3_50:                               ;   in Loop: Header=BB3_37 Depth=3
	s_or_b64 exec, exec, s[38:39]
	s_waitcnt lgkmcnt(0)
	s_barrier
	s_and_saveexec_b64 s[10:11], s[8:9]
	s_cbranch_execz .LBB3_58
; %bb.51:                               ;   in Loop: Header=BB3_37 Depth=3
	v_mov_b32_e32 v4, 0
	s_and_saveexec_b64 s[8:9], s[4:5]
	s_cbranch_execz .LBB3_55
; %bb.52:                               ;   in Loop: Header=BB3_37 Depth=3
	s_movk_i32 s40, 0x1000
	s_mov_b64 s[38:39], 0
	v_mov_b32_e32 v4, 0
	v_mov_b32_e32 v1, v0
.LBB3_53:                               ;   Parent Loop BB3_4 Depth=1
                                        ;     Parent Loop BB3_32 Depth=2
                                        ;       Parent Loop BB3_37 Depth=3
                                        ; =>      This Inner Loop Header: Depth=4
	v_mov_b32_e32 v2, s40
	ds_read_b32 v2, v2
	v_add_u32_e32 v1, -1, v1
	s_add_i32 s40, s40, 4
	v_cmp_eq_u32_e32 vcc, 0, v1
	s_or_b64 s[38:39], vcc, s[38:39]
	s_waitcnt lgkmcnt(0)
	v_add_u32_e32 v4, v2, v4
	s_andn2_b64 exec, exec, s[38:39]
	s_cbranch_execnz .LBB3_53
; %bb.54:                               ;   in Loop: Header=BB3_37 Depth=3
	s_or_b64 exec, exec, s[38:39]
.LBB3_55:                               ;   in Loop: Header=BB3_37 Depth=3
	s_or_b64 exec, exec, s[8:9]
	ds_read_b32 v1, v15 offset:4608
	ds_read_b64 v[7:8], v13
	ds_read_b64 v[20:21], v12
	ds_read_b32 v22, v11
	v_mov_b32_e32 v3, s50
	s_waitcnt lgkmcnt(3)
	v_add3_u32 v1, v4, v0, v1
	v_lshl_add_u32 v1, v1, 1, s74
	v_ashrrev_i32_e32 v2, 31, v1
	v_lshlrev_b64 v[5:6], 2, v[1:2]
	v_add_co_u32_e32 v1, vcc, s48, v5
	v_addc_co_u32_e32 v2, vcc, v3, v6, vcc
	v_mov_b32_e32 v3, s64
	v_add_co_u32_e32 v5, vcc, s51, v5
	v_addc_co_u32_e32 v6, vcc, v3, v6, vcc
	s_waitcnt lgkmcnt(0)
	v_cmp_ne_u32_e32 vcc, 0, v22
	global_store_dwordx2 v[1:2], v[20:21], off
	global_store_dwordx2 v[5:6], v[7:8], off
	s_and_saveexec_b64 s[8:9], vcc
	s_cbranch_execz .LBB3_57
; %bb.56:                               ;   in Loop: Header=BB3_37 Depth=3
	ds_read_b64 v[7:8], v12 offset:8
	ds_read_b64 v[20:21], v13 offset:8
	s_waitcnt lgkmcnt(1)
	global_store_dwordx2 v[1:2], v[7:8], off offset:8
	s_waitcnt lgkmcnt(0)
	global_store_dwordx2 v[5:6], v[20:21], off offset:8
.LBB3_57:                               ;   in Loop: Header=BB3_37 Depth=3
	s_or_b64 exec, exec, s[8:9]
.LBB3_58:                               ;   in Loop: Header=BB3_37 Depth=3
	s_or_b64 exec, exec, s[10:11]
	s_sub_i32 s8, s73, s79
	s_min_i32 s10, s8, 0x80
	s_add_i32 s8, s10, -1
	v_cmp_eq_u32_e32 vcc, s8, v0
	s_waitcnt vmcnt(0)
	s_barrier
	s_and_saveexec_b64 s[8:9], vcc
	s_cbranch_execz .LBB3_36
; %bb.59:                               ;   in Loop: Header=BB3_37 Depth=3
	ds_read_b32 v1, v11
	ds_read_b32 v2, v15 offset:4608
	v_add_u32_e32 v3, s10, v4
	s_waitcnt lgkmcnt(0)
	v_add3_u32 v1, v3, v1, v2
	ds_write_b32 v15, v1 offset:4608
	s_branch .LBB3_36
.LBB3_60:                               ;   in Loop: Header=BB3_32 Depth=2
	ds_read_b32 v1, v15 offset:4608
	s_waitcnt lgkmcnt(0)
	v_readfirstlane_b32 s73, v1
	s_and_saveexec_b64 s[8:9], s[2:3]
	s_cbranch_execz .LBB3_31
; %bb.61:                               ;   in Loop: Header=BB3_32 Depth=2
	ds_read_b64 v[1:2], v15
	s_waitcnt lgkmcnt(0)
	v_cmp_lt_f32_e64 vcc, |v1|, |v2|
	v_sub_f32_e32 v3, v2, v1
	v_cndmask_b32_e32 v1, v1, v2, vcc
	v_mul_f32_e64 v1, v14, |v1|
	v_cmp_lt_f32_e32 vcc, v19, v1
	v_cndmask_b32_e32 v1, v19, v1, vcc
	v_cmp_nlt_f32_e32 vcc, v3, v1
	s_cbranch_vccnz .LBB3_31
; %bb.62:                               ;   in Loop: Header=BB3_32 Depth=2
	ds_write_b8 v15, v17 offset:4613
	s_branch .LBB3_31
.LBB3_63:                               ;   in Loop: Header=BB3_4 Depth=1
                                        ; implicit-def: $sgpr23
                                        ; implicit-def: $sgpr74
                                        ; implicit-def: $sgpr7
                                        ; implicit-def: $sgpr73
                                        ; implicit-def: $vgpr4
	s_cbranch_execz .LBB3_3
	s_branch .LBB3_77
.LBB3_64:                               ;   in Loop: Header=BB3_4 Depth=1
	s_mov_b32 s74, s47
.LBB3_65:                               ;   in Loop: Header=BB3_4 Depth=1
	s_and_b64 s[28:29], s[2:3], s[38:39]
	s_and_saveexec_b64 s[10:11], s[28:29]
	s_cbranch_execz .LBB3_76
; %bb.66:                               ;   in Loop: Header=BB3_4 Depth=1
	s_cmp_lt_i32 s73, 1
	s_cbranch_scc1 .LBB3_74
; %bb.67:                               ;   in Loop: Header=BB3_4 Depth=1
	s_add_i32 s30, s6, 1
	s_not_b32 s31, s6
	s_and_b64 s[28:29], s[8:9], exec
	s_cselect_b32 s34, s30, s31
	s_mov_b32 s35, 0
	s_mov_b32 s36, 0
	s_branch .LBB3_69
.LBB3_68:                               ;   in Loop: Header=BB3_69 Depth=2
	s_add_i32 s35, s35, 1
	s_cmp_eq_u32 s35, s73
	s_cbranch_scc1 .LBB3_73
.LBB3_69:                               ;   Parent Loop BB3_4 Depth=1
                                        ; =>  This Loop Header: Depth=2
                                        ;       Child Loop BB3_71 Depth 3
	s_lshl_b32 s28, s35, 1
	s_add_i32 s28, s28, s74
	s_ashr_i32 s29, s28, 31
	s_lshl_b64 s[28:29], s[28:29], 2
	s_add_u32 s30, s51, s28
	s_addc_u32 s31, s64, s29
	global_load_dwordx2 v[1:2], v15, s[30:31]
	s_waitcnt vmcnt(0)
	v_readfirstlane_b32 s30, v1
	v_readfirstlane_b32 s37, v2
	s_sub_i32 s38, s37, s30
	s_cmp_lt_i32 s38, 1
	s_cbranch_scc1 .LBB3_68
; %bb.70:                               ;   in Loop: Header=BB3_69 Depth=2
	s_add_u32 s28, s48, s28
	s_addc_u32 s29, s50, s29
	global_load_dwordx2 v[1:2], v15, s[28:29]
	s_add_i32 s28, s22, s36
	s_ashr_i32 s29, s28, 31
	s_lshl_b64 s[30:31], s[28:29], 2
	s_add_u32 s28, s56, s30
	s_addc_u32 s29, s57, s31
	s_add_u32 s30, s58, s30
	s_addc_u32 s31, s59, s31
	s_mov_b32 s39, 0
	s_waitcnt vmcnt(0)
	v_add_f32_e32 v1, v1, v2
	v_mul_f32_e32 v1, 0.5, v1
.LBB3_71:                               ;   Parent Loop BB3_4 Depth=1
                                        ;     Parent Loop BB3_69 Depth=2
                                        ; =>    This Inner Loop Header: Depth=3
	s_add_i32 s39, s39, 1
	global_store_dword v15, v1, s[28:29]
	s_add_u32 s28, s28, 4
	v_mov_b32_e32 v2, s34
	s_addc_u32 s29, s29, 0
	global_store_dword v15, v2, s[30:31]
	s_add_u32 s30, s30, 4
	s_addc_u32 s31, s31, 0
	s_cmp_ge_i32 s39, s38
	s_cbranch_scc0 .LBB3_71
; %bb.72:                               ;   in Loop: Header=BB3_69 Depth=2
	s_add_i32 s36, s36, s39
	s_branch .LBB3_68
.LBB3_73:                               ;   in Loop: Header=BB3_4 Depth=1
	v_mov_b32_e32 v4, s37
.LBB3_74:                               ;   in Loop: Header=BB3_4 Depth=1
	s_xor_b64 s[8:9], s[8:9], -1
	s_and_b64 vcc, exec, s[8:9]
	s_cbranch_vccz .LBB3_76
; %bb.75:                               ;   in Loop: Header=BB3_4 Depth=1
	global_store_dword v15, v17, s[14:15]
.LBB3_76:                               ;   in Loop: Header=BB3_4 Depth=1
	s_or_b64 exec, exec, s[10:11]
	s_branch .LBB3_3
.LBB3_77:                               ;   in Loop: Header=BB3_4 Depth=1
	s_and_saveexec_b64 s[8:9], s[2:3]
	s_cbranch_execz .LBB3_2
; %bb.78:                               ;   in Loop: Header=BB3_4 Depth=1
	s_ashr_i32 s23, s22, 31
	s_lshl_b64 s[10:11], s[22:23], 2
	s_add_u32 s22, s52, s10
	s_addc_u32 s23, s53, s11
	global_load_dword v1, v15, s[22:23]
	s_andn2_b64 vcc, exec, s[16:17]
	s_mov_b64 s[22:23], -1
	s_cbranch_vccnz .LBB3_83
; %bb.79:                               ;   in Loop: Header=BB3_4 Depth=1
	global_load_dword v3, v15, s[12:13]
	s_waitcnt vmcnt(1)
	v_subrev_f32_e32 v2, s63, v1
	s_mov_b64 s[22:23], 0
	s_waitcnt vmcnt(0)
	v_cmp_lt_f32_e32 vcc, v3, v2
	v_cmp_nlt_f32_e64 s[28:29], v3, v2
	s_cbranch_vccz .LBB3_81
; %bb.80:                               ;   in Loop: Header=BB3_4 Depth=1
	global_load_dword v3, v15, s[12:13] offset:4
	s_mov_b64 s[22:23], -1
	s_waitcnt vmcnt(0)
	v_cmp_nge_f32_e64 s[28:29], v3, v2
.LBB3_81:                               ;   in Loop: Header=BB3_4 Depth=1
	s_andn2_b64 vcc, exec, s[28:29]
	s_cbranch_vccnz .LBB3_83
; %bb.82:                               ;   in Loop: Header=BB3_4 Depth=1
	s_add_u32 s22, s65, s20
	s_addc_u32 s23, s66, s21
	global_store_dword v15, v15, s[22:23]
	s_mov_b64 s[22:23], 0
.LBB3_83:                               ;   in Loop: Header=BB3_4 Depth=1
	s_and_b64 vcc, exec, s[22:23]
	s_cbranch_vccz .LBB3_2
; %bb.84:                               ;   in Loop: Header=BB3_4 Depth=1
	s_add_u32 s22, s56, s10
	s_addc_u32 s23, s57, s11
	s_add_u32 s20, s65, s20
	s_addc_u32 s21, s66, s21
	s_add_i32 s7, s6, 1
	s_add_u32 s10, s58, s10
	s_waitcnt vmcnt(0)
	global_store_dword v15, v1, s[22:23]
	s_addc_u32 s11, s59, s11
	v_mov_b32_e32 v1, s7
	global_store_dword v15, v17, s[20:21]
	global_store_dword v15, v1, s[10:11]
	s_branch .LBB3_2
.LBB3_85:
	s_endpgm
	.section	.rodata,"a",@progbits
	.p2align	6, 0x0
	.amdhsa_kernel _ZN9rocsolver6v33100L22stebz_bisection_kernelIfPfEEv15rocblas_erange_iT_T0_iiS5_iiPiPS4_lS6_lS6_lS6_S6_S7_S7_S7_S7_S6_S4_S4_
		.amdhsa_group_segment_fixed_size 4616
		.amdhsa_private_segment_fixed_size 0
		.amdhsa_kernarg_size 168
		.amdhsa_user_sgpr_count 6
		.amdhsa_user_sgpr_private_segment_buffer 1
		.amdhsa_user_sgpr_dispatch_ptr 0
		.amdhsa_user_sgpr_queue_ptr 0
		.amdhsa_user_sgpr_kernarg_segment_ptr 1
		.amdhsa_user_sgpr_dispatch_id 0
		.amdhsa_user_sgpr_flat_scratch_init 0
		.amdhsa_user_sgpr_private_segment_size 0
		.amdhsa_uses_dynamic_stack 0
		.amdhsa_system_sgpr_private_segment_wavefront_offset 0
		.amdhsa_system_sgpr_workgroup_id_x 1
		.amdhsa_system_sgpr_workgroup_id_y 1
		.amdhsa_system_sgpr_workgroup_id_z 0
		.amdhsa_system_sgpr_workgroup_info 0
		.amdhsa_system_vgpr_workitem_id 0
		.amdhsa_next_free_vgpr 33
		.amdhsa_next_free_sgpr 84
		.amdhsa_reserve_vcc 1
		.amdhsa_reserve_flat_scratch 0
		.amdhsa_float_round_mode_32 0
		.amdhsa_float_round_mode_16_64 0
		.amdhsa_float_denorm_mode_32 3
		.amdhsa_float_denorm_mode_16_64 3
		.amdhsa_dx10_clamp 1
		.amdhsa_ieee_mode 1
		.amdhsa_fp16_overflow 0
		.amdhsa_exception_fp_ieee_invalid_op 0
		.amdhsa_exception_fp_denorm_src 0
		.amdhsa_exception_fp_ieee_div_zero 0
		.amdhsa_exception_fp_ieee_overflow 0
		.amdhsa_exception_fp_ieee_underflow 0
		.amdhsa_exception_fp_ieee_inexact 0
		.amdhsa_exception_int_div_zero 0
	.end_amdhsa_kernel
	.section	.text._ZN9rocsolver6v33100L22stebz_bisection_kernelIfPfEEv15rocblas_erange_iT_T0_iiS5_iiPiPS4_lS6_lS6_lS6_S6_S7_S7_S7_S7_S6_S4_S4_,"axG",@progbits,_ZN9rocsolver6v33100L22stebz_bisection_kernelIfPfEEv15rocblas_erange_iT_T0_iiS5_iiPiPS4_lS6_lS6_lS6_S6_S7_S7_S7_S7_S6_S4_S4_,comdat
.Lfunc_end3:
	.size	_ZN9rocsolver6v33100L22stebz_bisection_kernelIfPfEEv15rocblas_erange_iT_T0_iiS5_iiPiPS4_lS6_lS6_lS6_S6_S7_S7_S7_S7_S6_S4_S4_, .Lfunc_end3-_ZN9rocsolver6v33100L22stebz_bisection_kernelIfPfEEv15rocblas_erange_iT_T0_iiS5_iiPiPS4_lS6_lS6_lS6_S6_S7_S7_S7_S7_S6_S4_S4_
                                        ; -- End function
	.set _ZN9rocsolver6v33100L22stebz_bisection_kernelIfPfEEv15rocblas_erange_iT_T0_iiS5_iiPiPS4_lS6_lS6_lS6_S6_S7_S7_S7_S7_S6_S4_S4_.num_vgpr, 26
	.set _ZN9rocsolver6v33100L22stebz_bisection_kernelIfPfEEv15rocblas_erange_iT_T0_iiS5_iiPiPS4_lS6_lS6_lS6_S6_S7_S7_S7_S7_S6_S4_S4_.num_agpr, 0
	.set _ZN9rocsolver6v33100L22stebz_bisection_kernelIfPfEEv15rocblas_erange_iT_T0_iiS5_iiPiPS4_lS6_lS6_lS6_S6_S7_S7_S7_S7_S6_S4_S4_.numbered_sgpr, 84
	.set _ZN9rocsolver6v33100L22stebz_bisection_kernelIfPfEEv15rocblas_erange_iT_T0_iiS5_iiPiPS4_lS6_lS6_lS6_S6_S7_S7_S7_S7_S6_S4_S4_.num_named_barrier, 0
	.set _ZN9rocsolver6v33100L22stebz_bisection_kernelIfPfEEv15rocblas_erange_iT_T0_iiS5_iiPiPS4_lS6_lS6_lS6_S6_S7_S7_S7_S7_S6_S4_S4_.private_seg_size, 0
	.set _ZN9rocsolver6v33100L22stebz_bisection_kernelIfPfEEv15rocblas_erange_iT_T0_iiS5_iiPiPS4_lS6_lS6_lS6_S6_S7_S7_S7_S7_S6_S4_S4_.uses_vcc, 1
	.set _ZN9rocsolver6v33100L22stebz_bisection_kernelIfPfEEv15rocblas_erange_iT_T0_iiS5_iiPiPS4_lS6_lS6_lS6_S6_S7_S7_S7_S7_S6_S4_S4_.uses_flat_scratch, 0
	.set _ZN9rocsolver6v33100L22stebz_bisection_kernelIfPfEEv15rocblas_erange_iT_T0_iiS5_iiPiPS4_lS6_lS6_lS6_S6_S7_S7_S7_S7_S6_S4_S4_.has_dyn_sized_stack, 0
	.set _ZN9rocsolver6v33100L22stebz_bisection_kernelIfPfEEv15rocblas_erange_iT_T0_iiS5_iiPiPS4_lS6_lS6_lS6_S6_S7_S7_S7_S7_S6_S4_S4_.has_recursion, 0
	.set _ZN9rocsolver6v33100L22stebz_bisection_kernelIfPfEEv15rocblas_erange_iT_T0_iiS5_iiPiPS4_lS6_lS6_lS6_S6_S7_S7_S7_S7_S6_S4_S4_.has_indirect_call, 0
	.section	.AMDGPU.csdata,"",@progbits
; Kernel info:
; codeLenInByte = 3796
; TotalNumSgprs: 88
; NumVgprs: 26
; ScratchSize: 0
; MemoryBound: 0
; FloatMode: 240
; IeeeMode: 1
; LDSByteSize: 4616 bytes/workgroup (compile time only)
; SGPRBlocks: 10
; VGPRBlocks: 8
; NumSGPRsForWavesPerEU: 88
; NumVGPRsForWavesPerEU: 33
; Occupancy: 7
; WaveLimiterHint : 1
; COMPUTE_PGM_RSRC2:SCRATCH_EN: 0
; COMPUTE_PGM_RSRC2:USER_SGPR: 6
; COMPUTE_PGM_RSRC2:TRAP_HANDLER: 0
; COMPUTE_PGM_RSRC2:TGID_X_EN: 1
; COMPUTE_PGM_RSRC2:TGID_Y_EN: 1
; COMPUTE_PGM_RSRC2:TGID_Z_EN: 0
; COMPUTE_PGM_RSRC2:TIDIG_COMP_CNT: 0
	.section	.text._ZN9rocsolver6v33100L22stebz_synthesis_kernelIfPfEEv15rocblas_erange_15rocblas_eorder_iiiT0_iiPiS6_PT_lS6_lS6_liS6_S8_S8_S8_S8_S6_S7_,"axG",@progbits,_ZN9rocsolver6v33100L22stebz_synthesis_kernelIfPfEEv15rocblas_erange_15rocblas_eorder_iiiT0_iiPiS6_PT_lS6_lS6_liS6_S8_S8_S8_S8_S6_S7_,comdat
	.globl	_ZN9rocsolver6v33100L22stebz_synthesis_kernelIfPfEEv15rocblas_erange_15rocblas_eorder_iiiT0_iiPiS6_PT_lS6_lS6_liS6_S8_S8_S8_S8_S6_S7_ ; -- Begin function _ZN9rocsolver6v33100L22stebz_synthesis_kernelIfPfEEv15rocblas_erange_15rocblas_eorder_iiiT0_iiPiS6_PT_lS6_lS6_liS6_S8_S8_S8_S8_S6_S7_
	.p2align	8
	.type	_ZN9rocsolver6v33100L22stebz_synthesis_kernelIfPfEEv15rocblas_erange_15rocblas_eorder_iiiT0_iiPiS6_PT_lS6_lS6_liS6_S8_S8_S8_S8_S6_S7_,@function
_ZN9rocsolver6v33100L22stebz_synthesis_kernelIfPfEEv15rocblas_erange_15rocblas_eorder_iiiT0_iiPiS6_PT_lS6_lS6_liS6_S8_S8_S8_S8_S6_S7_: ; @_ZN9rocsolver6v33100L22stebz_synthesis_kernelIfPfEEv15rocblas_erange_15rocblas_eorder_iiiT0_iiPiS6_PT_lS6_lS6_liS6_S8_S8_S8_S8_S6_S7_
; %bb.0:
	s_load_dword s0, s[4:5], 0xb4
	s_load_dword s1, s[4:5], 0x68
	s_waitcnt lgkmcnt(0)
	s_and_b32 s0, s0, 0xffff
	s_mul_i32 s6, s6, s0
	v_add_u32_e32 v8, s6, v0
	v_cmp_gt_i32_e32 vcc, s1, v8
	s_and_saveexec_b64 s[0:1], vcc
	s_cbranch_execz .LBB4_61
; %bb.1:
	s_load_dwordx16 s[8:23], s[4:5], 0x28
	v_ashrrev_i32_e32 v9, 31, v8
	v_lshlrev_b64 v[4:5], 2, v[8:9]
	s_waitcnt lgkmcnt(0)
	v_mov_b32_e32 v1, s11
	v_add_co_u32_e32 v0, vcc, s10, v4
	v_addc_co_u32_e32 v1, vcc, v1, v5, vcc
	global_load_dword v26, v[0:1], off
	v_mul_lo_u32 v6, s15, v8
	v_mul_lo_u32 v7, s14, v9
	v_mad_u64_u32 v[0:1], s[0:1], s14, v8, 0
	v_mul_lo_u32 v12, s19, v8
	v_mul_lo_u32 v13, s18, v9
	v_mad_u64_u32 v[2:3], s[0:1], s18, v8, 0
	s_load_dwordx4 s[36:39], s[4:5], 0x0
	s_load_dword s33, s[4:5], 0x10
	s_load_dwordx8 s[24:31], s[4:5], 0x70
	v_mul_lo_u32 v15, s23, v8
	v_mul_lo_u32 v17, s22, v9
	v_mad_u64_u32 v[9:10], s[0:1], s22, v8, 0
	v_add3_u32 v1, v1, v7, v6
	v_lshlrev_b64 v[6:7], 2, v[0:1]
	s_waitcnt lgkmcnt(0)
	v_mul_lo_u32 v14, v8, s38
	v_add3_u32 v3, v3, v13, v12
	v_mov_b32_e32 v11, s13
	v_lshlrev_b64 v[12:13], 2, v[2:3]
	v_add_co_u32_e32 v0, vcc, s12, v6
	v_add3_u32 v10, v10, v17, v15
	v_addc_co_u32_e32 v1, vcc, v11, v7, vcc
	v_mov_b32_e32 v16, s17
	v_lshlrev_b64 v[9:10], 2, v[9:10]
	v_add_co_u32_e32 v2, vcc, s16, v12
	v_ashrrev_i32_e32 v15, 31, v14
	v_addc_co_u32_e32 v3, vcc, v16, v13, vcc
	v_mov_b32_e32 v18, s21
	v_lshlrev_b64 v[14:15], 2, v[14:15]
	v_add_co_u32_e32 v28, vcc, s20, v9
	v_addc_co_u32_e32 v30, vcc, v18, v10, vcc
	v_mov_b32_e32 v19, s25
	v_add_co_u32_e32 v27, vcc, s24, v14
	v_addc_co_u32_e32 v29, vcc, v19, v15, vcc
	s_cmpk_eq_i32 s36, 0xe9
	s_waitcnt vmcnt(0)
	v_cmp_lt_i32_e32 vcc, 0, v26
	v_cmp_gt_i32_e64 s[0:1], 1, v26
	s_cbranch_scc1 .LBB4_12
; %bb.2:
	v_mov_b32_e32 v10, 0
	s_and_saveexec_b64 s[6:7], vcc
	s_cbranch_execz .LBB4_14
; %bb.3:
	s_mov_b32 s15, 0
	s_mov_b64 s[10:11], 0
	v_mov_b32_e32 v10, 0
	s_mov_b32 s14, s15
	s_branch .LBB4_5
.LBB4_4:                                ;   in Loop: Header=BB4_5 Depth=1
	s_or_b64 exec, exec, s[18:19]
	s_add_i32 s14, s14, 1
	v_cmp_eq_u32_e32 vcc, s14, v26
	s_or_b64 s[10:11], vcc, s[10:11]
	s_andn2_b64 exec, exec, s[10:11]
	s_cbranch_execz .LBB4_13
.LBB4_5:                                ; =>This Loop Header: Depth=1
                                        ;     Child Loop BB4_10 Depth 2
	s_cmp_eq_u32 s14, 0
	s_cbranch_scc1 .LBB4_7
; %bb.6:                                ;   in Loop: Header=BB4_5 Depth=1
	s_lshl_b64 s[2:3], s[14:15], 2
	v_mov_b32_e32 v9, s3
	v_add_co_u32_e32 v14, vcc, s2, v28
	v_addc_co_u32_e32 v15, vcc, v30, v9, vcc
	global_load_dword v16, v[14:15], off offset:-4
	s_mov_b64 s[2:3], s[14:15]
	s_branch .LBB4_8
.LBB4_7:                                ;   in Loop: Header=BB4_5 Depth=1
	v_mov_b32_e32 v16, 0
	s_mov_b64 s[2:3], 0
.LBB4_8:                                ;   in Loop: Header=BB4_5 Depth=1
	s_lshl_b64 s[2:3], s[2:3], 2
	v_mov_b32_e32 v9, s3
	v_add_co_u32_e32 v14, vcc, s2, v27
	v_addc_co_u32_e32 v15, vcc, v29, v9, vcc
	global_load_dword v9, v[14:15], off
	s_waitcnt vmcnt(0)
	v_cmp_lt_i32_e32 vcc, 0, v9
	s_and_saveexec_b64 s[18:19], vcc
	s_cbranch_execz .LBB4_4
; %bb.9:                                ;   in Loop: Header=BB4_5 Depth=1
	v_ashrrev_i32_e32 v17, 31, v16
	v_ashrrev_i32_e32 v11, 31, v10
	v_lshlrev_b64 v[16:17], 2, v[16:17]
	v_lshlrev_b64 v[18:19], 2, v[10:11]
	v_mov_b32_e32 v21, v3
	v_mov_b32_e32 v23, v1
	s_mov_b32 s22, 0
	s_mov_b64 s[20:21], 0
	v_mov_b32_e32 v20, v2
	v_mov_b32_e32 v22, v0
.LBB4_10:                               ;   Parent Loop BB4_5 Depth=1
                                        ; =>  This Inner Loop Header: Depth=2
	v_add_co_u32_e32 v24, vcc, v20, v16
	v_addc_co_u32_e32 v25, vcc, v21, v17, vcc
	global_load_dword v9, v[24:25], off
	v_add_co_u32_e64 v31, s[2:3], v20, v18
	v_addc_co_u32_e64 v32, s[2:3], v21, v19, s[2:3]
	v_add_co_u32_e32 v24, vcc, v22, v16
	v_addc_co_u32_e32 v25, vcc, v23, v17, vcc
	s_add_i32 s22, s22, 1
	s_waitcnt vmcnt(0)
	global_store_dword v[31:32], v9, off
	global_load_dword v11, v[14:15], off
	s_nop 0
	global_load_dword v31, v[24:25], off
	v_add_co_u32_e32 v24, vcc, v22, v18
	v_addc_co_u32_e32 v25, vcc, v23, v19, vcc
	v_add_co_u32_e32 v22, vcc, 4, v22
	v_addc_co_u32_e32 v23, vcc, 0, v23, vcc
	;; [unrolled: 2-line block ×3, first 2 shown]
	v_add_u32_e32 v9, s22, v10
	s_waitcnt vmcnt(1)
	v_cmp_ge_i32_e32 vcc, s22, v11
	s_or_b64 s[20:21], vcc, s[20:21]
	s_waitcnt vmcnt(0)
	global_store_dword v[24:25], v31, off
	s_andn2_b64 exec, exec, s[20:21]
	s_cbranch_execnz .LBB4_10
; %bb.11:                               ;   in Loop: Header=BB4_5 Depth=1
	s_or_b64 exec, exec, s[20:21]
	v_mov_b32_e32 v10, v9
	s_branch .LBB4_4
.LBB4_12:
                                        ; implicit-def: $vgpr10
	s_branch .LBB4_15
.LBB4_13:
	s_or_b64 exec, exec, s[10:11]
.LBB4_14:
	s_or_b64 exec, exec, s[6:7]
	s_cbranch_execnz .LBB4_53
.LBB4_15:
	v_mov_b32_e32 v10, s27
	v_add_co_u32_e32 v9, vcc, s26, v4
	v_addc_co_u32_e32 v10, vcc, v10, v5, vcc
	global_load_dword v25, v[9:10], off
	v_lshlrev_b32_e32 v14, 1, v8
	s_load_dwordx4 s[20:23], s[4:5], 0x90
	v_mul_lo_u32 v10, v14, s38
                                        ; implicit-def: $sgpr2_sgpr3
	v_ashrrev_i32_e32 v11, 31, v10
	s_and_saveexec_b64 s[6:7], s[0:1]
	s_xor_b64 s[0:1], exec, s[6:7]
; %bb.16:
	s_ashr_i32 s3, s38, 31
	s_mov_b32 s2, s38
                                        ; implicit-def: $vgpr26
                                        ; implicit-def: $vgpr27
                                        ; implicit-def: $vgpr29
                                        ; implicit-def: $vgpr28
                                        ; implicit-def: $vgpr30
                                        ; implicit-def: $vgpr12_vgpr13
; %bb.17:
	s_or_saveexec_b64 s[6:7], s[0:1]
	v_lshlrev_b64 v[15:16], 2, v[10:11]
	v_mov_b32_e32 v11, s3
	v_mov_b32_e32 v9, 0
	;; [unrolled: 1-line block ×3, first 2 shown]
	s_xor_b64 exec, exec, s[6:7]
	s_cbranch_execz .LBB4_28
; %bb.18:
	v_mov_b32_e32 v9, s13
	v_add_co_u32_e32 v31, vcc, s12, v6
	v_addc_co_u32_e32 v32, vcc, v9, v7, vcc
	v_mov_b32_e32 v9, s17
	v_add_co_u32_e32 v33, vcc, s16, v12
	v_addc_co_u32_e32 v13, vcc, v9, v13, vcc
	s_waitcnt lgkmcnt(0)
	v_mov_b32_e32 v9, s21
	v_add_co_u32_e32 v34, vcc, s20, v15
	v_addc_co_u32_e32 v35, vcc, v9, v16, vcc
	s_ashr_i32 s11, s38, 31
	s_mov_b32 s10, s38
	v_mov_b32_e32 v9, s23
	v_add_co_u32_e32 v36, vcc, s22, v15
	s_mov_b32 s25, 0
	s_lshl_b64 s[14:15], s[10:11], 2
	v_addc_co_u32_e32 v37, vcc, v9, v16, vcc
	s_mov_b64 s[18:19], 0
	v_mov_b32_e32 v9, 0
	s_mov_b32 s24, s25
	s_branch .LBB4_20
.LBB4_19:                               ;   in Loop: Header=BB4_20 Depth=1
	s_or_b64 exec, exec, s[26:27]
	s_add_i32 s24, s24, 1
	v_cmp_eq_u32_e32 vcc, s24, v26
	s_or_b64 s[18:19], vcc, s[18:19]
	s_andn2_b64 exec, exec, s[18:19]
	s_cbranch_execz .LBB4_27
.LBB4_20:                               ; =>This Loop Header: Depth=1
                                        ;     Child Loop BB4_25 Depth 2
	s_cmp_eq_u32 s24, 0
	s_cbranch_scc1 .LBB4_22
; %bb.21:                               ;   in Loop: Header=BB4_20 Depth=1
	s_lshl_b64 s[0:1], s[24:25], 2
	v_mov_b32_e32 v11, s1
	v_add_co_u32_e32 v10, vcc, s0, v28
	v_addc_co_u32_e32 v11, vcc, v30, v11, vcc
	global_load_dword v17, v[10:11], off offset:-4
	s_mov_b64 s[0:1], s[24:25]
	s_branch .LBB4_23
.LBB4_22:                               ;   in Loop: Header=BB4_20 Depth=1
	v_mov_b32_e32 v17, 0
	s_mov_b64 s[0:1], 0
.LBB4_23:                               ;   in Loop: Header=BB4_20 Depth=1
	s_lshl_b64 s[0:1], s[0:1], 2
	v_mov_b32_e32 v10, s1
	v_add_co_u32_e32 v11, vcc, s0, v27
	v_addc_co_u32_e32 v12, vcc, v29, v10, vcc
	global_load_dword v10, v[11:12], off
	s_waitcnt vmcnt(0)
	v_cmp_lt_i32_e32 vcc, 0, v10
	s_and_saveexec_b64 s[26:27], vcc
	s_cbranch_execz .LBB4_19
; %bb.24:                               ;   in Loop: Header=BB4_20 Depth=1
	v_ashrrev_i32_e32 v18, 31, v17
	v_lshlrev_b64 v[19:20], 2, v[17:18]
	v_ashrrev_i32_e32 v10, 31, v9
	v_add_co_u32_e32 v17, vcc, v31, v19
	v_addc_co_u32_e32 v18, vcc, v32, v20, vcc
	v_add_co_u32_e32 v19, vcc, v33, v19
	v_lshlrev_b64 v[23:24], 2, v[9:10]
	v_addc_co_u32_e32 v20, vcc, v13, v20, vcc
	v_add_co_u32_e32 v21, vcc, v34, v23
	v_addc_co_u32_e32 v22, vcc, v35, v24, vcc
	v_add_co_u32_e32 v23, vcc, v36, v23
	v_addc_co_u32_e32 v24, vcc, v37, v24, vcc
	s_mov_b32 s36, 0
	s_mov_b64 s[34:35], 0
.LBB4_25:                               ;   Parent Loop BB4_20 Depth=1
                                        ; =>  This Inner Loop Header: Depth=2
	global_load_dword v10, v[19:20], off
	v_add_co_u32_e64 v19, s[0:1], 4, v19
	v_add_co_u32_e64 v38, s[2:3], s14, v21
	s_add_i32 s36, s36, 1
	s_waitcnt vmcnt(0)
	global_store_dword v[23:24], v10, off
	global_load_dword v40, v[11:12], off
	global_load_dword v41, v[17:18], off
	v_mov_b32_e32 v10, s15
	v_add_co_u32_e32 v17, vcc, 4, v17
	v_addc_co_u32_e32 v18, vcc, 0, v18, vcc
	v_addc_co_u32_e64 v20, vcc, 0, v20, s[0:1]
	v_addc_co_u32_e64 v39, vcc, v22, v10, s[2:3]
	v_add_co_u32_e64 v23, s[0:1], 4, v23
	v_add_u32_e32 v10, s36, v9
	s_waitcnt vmcnt(0)
	global_store_dword v[21:22], v41, off
	global_store_dword v[38:39], v41, off
	v_add_co_u32_e32 v21, vcc, 4, v21
	v_addc_co_u32_e32 v22, vcc, 0, v22, vcc
	v_cmp_ge_i32_e32 vcc, s36, v40
	s_or_b64 s[34:35], vcc, s[34:35]
	v_addc_co_u32_e64 v24, vcc, 0, v24, s[0:1]
	s_andn2_b64 exec, exec, s[34:35]
	s_cbranch_execnz .LBB4_25
; %bb.26:                               ;   in Loop: Header=BB4_20 Depth=1
	s_or_b64 exec, exec, s[34:35]
	v_mov_b32_e32 v9, v10
	s_branch .LBB4_19
.LBB4_27:
	s_or_b64 exec, exec, s[18:19]
	v_mov_b32_e32 v10, s10
	v_mov_b32_e32 v11, s11
.LBB4_28:
	s_or_b64 exec, exec, s[6:7]
; %bb.29:
	s_waitcnt lgkmcnt(0)
	v_mov_b32_e32 v12, s21
	v_add_co_u32_e32 v24, vcc, s20, v15
	v_addc_co_u32_e32 v26, vcc, v12, v16, vcc
	v_mov_b32_e32 v12, s23
	v_add_co_u32_e32 v27, vcc, s22, v15
	v_lshlrev_b64 v[10:11], 2, v[10:11]
	v_addc_co_u32_e32 v28, vcc, v12, v16, vcc
	v_add_co_u32_e32 v12, vcc, v24, v10
	v_addc_co_u32_e32 v13, vcc, v26, v11, vcc
	s_mov_b32 s0, 1
	v_cmp_lt_i32_e32 vcc, 1, v9
	s_and_saveexec_b64 s[2:3], vcc
	s_cbranch_execz .LBB4_37
; %bb.30:
	v_add_co_u32_e32 v20, vcc, v27, v10
	v_addc_co_u32_e32 v21, vcc, v28, v11, vcc
	v_add_co_u32_e32 v10, vcc, v10, v15
	v_addc_co_u32_e32 v11, vcc, v11, v16, vcc
	v_mov_b32_e32 v15, s21
	v_add_co_u32_e32 v10, vcc, s20, v10
	v_addc_co_u32_e32 v11, vcc, v15, v11, vcc
	s_cmp_lg_u64 s[22:23], 0
	v_add_co_u32_e32 v10, vcc, 4, v10
	s_mov_b64 s[6:7], 0
	s_cselect_b64 s[10:11], -1, 0
	v_addc_co_u32_e32 v11, vcc, 0, v11, vcc
	s_branch .LBB4_32
.LBB4_31:                               ;   in Loop: Header=BB4_32 Depth=1
	s_or_b64 exec, exec, s[18:19]
	s_add_i32 s0, s0, 1
	v_cmp_eq_u32_e32 vcc, s0, v9
	s_or_b64 s[6:7], vcc, s[6:7]
	v_add_co_u32_e32 v10, vcc, 4, v10
	v_addc_co_u32_e32 v11, vcc, 0, v11, vcc
	s_andn2_b64 exec, exec, s[6:7]
	s_cbranch_execz .LBB4_37
.LBB4_32:                               ; =>This Loop Header: Depth=1
                                        ;     Child Loop BB4_33 Depth 2
	s_ashr_i32 s1, s0, 31
	s_lshl_b64 s[14:15], s[0:1], 2
	v_mov_b32_e32 v16, s15
	v_add_co_u32_e32 v15, vcc, s14, v12
	v_addc_co_u32_e32 v16, vcc, v13, v16, vcc
	global_load_dword v22, v[15:16], off offset:-4
	s_add_i32 s1, s0, -1
	v_mov_b32_e32 v19, v11
	v_mov_b32_e32 v17, s1
	s_mov_b64 s[18:19], 0
	v_mov_b32_e32 v18, v10
	s_mov_b32 s20, s0
	s_waitcnt vmcnt(0)
	v_mov_b32_e32 v23, v22
.LBB4_33:                               ;   Parent Loop BB4_32 Depth=1
                                        ; =>  This Inner Loop Header: Depth=2
	global_load_dword v29, v[18:19], off
	v_add_co_u32_e32 v18, vcc, 4, v18
	v_mov_b32_e32 v30, s20
	s_add_i32 s20, s20, 1
	v_addc_co_u32_e32 v19, vcc, 0, v19, vcc
	v_cmp_eq_u32_e32 vcc, s20, v9
	s_or_b64 s[18:19], vcc, s[18:19]
	s_waitcnt vmcnt(0)
	v_cmp_lt_f32_e32 vcc, v29, v23
	v_cndmask_b32_e32 v23, v23, v29, vcc
	v_cndmask_b32_e32 v17, v17, v30, vcc
	s_andn2_b64 exec, exec, s[18:19]
	s_cbranch_execnz .LBB4_33
; %bb.34:                               ;   in Loop: Header=BB4_32 Depth=1
	s_or_b64 exec, exec, s[18:19]
	v_cmp_ne_u32_e32 vcc, s1, v17
	s_and_saveexec_b64 s[18:19], vcc
	s_cbranch_execz .LBB4_31
; %bb.35:                               ;   in Loop: Header=BB4_32 Depth=1
	v_ashrrev_i32_e32 v18, 31, v17
	v_lshlrev_b64 v[17:18], 2, v[17:18]
	v_add_co_u32_e32 v29, vcc, v12, v17
	v_addc_co_u32_e32 v30, vcc, v13, v18, vcc
	s_andn2_b64 vcc, exec, s[10:11]
	global_store_dword v[29:30], v22, off
	global_store_dword v[15:16], v23, off offset:-4
	s_cbranch_vccnz .LBB4_31
; %bb.36:                               ;   in Loop: Header=BB4_32 Depth=1
	v_mov_b32_e32 v16, s15
	v_add_co_u32_e32 v15, vcc, s14, v20
	v_addc_co_u32_e32 v16, vcc, v21, v16, vcc
	v_add_co_u32_e32 v17, vcc, v20, v17
	v_addc_co_u32_e32 v18, vcc, v21, v18, vcc
	global_load_dword v19, v[15:16], off offset:-4
	global_load_dword v22, v[17:18], off
	s_waitcnt vmcnt(1)
	global_store_dword v[17:18], v19, off
	s_waitcnt vmcnt(1)
	global_store_dword v[15:16], v22, off offset:-4
	s_branch .LBB4_31
.LBB4_37:
	s_or_b64 exec, exec, s[2:3]
	v_mov_b32_e32 v10, 0
	v_cmp_lt_i32_e32 vcc, 0, v9
	s_and_saveexec_b64 s[6:7], vcc
	s_cbranch_execz .LBB4_52
; %bb.38:
	s_load_dwordx4 s[0:3], s[4:5], 0x18
	s_add_i32 s26, s38, -1
	v_mul_lo_u32 v18, v8, s26
	v_mov_b32_e32 v20, s31
	v_add_u32_e32 v30, -1, v9
	s_waitcnt lgkmcnt(0)
	v_mad_i64_i32 v[10:11], s[10:11], v8, s3, 0
	s_ashr_i32 s5, s2, 31
	s_mov_b32 s4, s2
	v_lshlrev_b64 v[10:11], 2, v[10:11]
	v_mov_b32_e32 v15, s1
	v_add_co_u32_e32 v16, vcc, s0, v10
	s_lshl_b64 s[4:5], s[4:5], 2
	v_addc_co_u32_e32 v15, vcc, v15, v11, vcc
	v_ashrrev_i32_e32 v19, 31, v18
	v_mov_b32_e32 v17, s5
	v_add_co_u32_e32 v16, vcc, s4, v16
	v_lshlrev_b64 v[18:19], 2, v[18:19]
	v_addc_co_u32_e32 v17, vcc, v15, v17, vcc
	v_ashrrev_i32_e32 v15, 31, v14
	v_mov_b32_e32 v8, s29
	v_add_co_u32_e32 v18, vcc, s28, v18
	v_lshlrev_b64 v[14:15], 2, v[14:15]
	v_addc_co_u32_e32 v19, vcc, v8, v19, vcc
	s_cmp_gt_i32 s38, 1
	v_add_co_u32_e32 v8, vcc, s30, v14
	s_cselect_b64 s[2:3], -1, 0
	s_add_u32 s0, s0, s4
	v_addc_co_u32_e32 v29, vcc, v20, v15, vcc
	s_addc_u32 s1, s1, s5
	v_mov_b32_e32 v14, s1
	v_add_co_u32_e32 v10, vcc, s0, v10
	v_addc_co_u32_e32 v11, vcc, v14, v11, vcc
	v_add_co_u32_e32 v14, vcc, 4, v10
	s_mov_b32 s11, 0
	v_addc_co_u32_e32 v15, vcc, 0, v11, vcc
	s_mov_b64 s[4:5], 0
	v_mov_b32_e32 v10, 0
	s_mov_b32 s10, s11
	s_branch .LBB4_41
.LBB4_39:                               ;   in Loop: Header=BB4_41 Depth=1
	s_or_b64 exec, exec, s[0:1]
.LBB4_40:                               ;   in Loop: Header=BB4_41 Depth=1
	s_or_b64 exec, exec, s[18:19]
	s_add_i32 s10, s10, 1
	v_cmp_eq_u32_e32 vcc, s10, v9
	s_or_b64 s[4:5], vcc, s[4:5]
	s_andn2_b64 exec, exec, s[4:5]
	s_cbranch_execz .LBB4_51
.LBB4_41:                               ; =>This Loop Header: Depth=1
                                        ;     Child Loop BB4_43 Depth 2
                                        ;     Child Loop BB4_48 Depth 2
	s_lshl_b64 s[14:15], s[10:11], 2
	v_mov_b32_e32 v11, s15
	v_add_co_u32_e32 v20, vcc, s14, v24
	v_addc_co_u32_e32 v21, vcc, v26, v11, vcc
	global_load_dword v31, v[20:21], off
	v_mov_b32_e32 v23, v13
	s_mov_b64 s[18:19], 0
	v_mov_b32_e32 v22, v12
	s_mov_b32 s27, s11
                                        ; implicit-def: $sgpr0_sgpr1
                                        ; implicit-def: $sgpr22_sgpr23
                                        ; implicit-def: $sgpr20_sgpr21
	s_branch .LBB4_43
.LBB4_42:                               ;   in Loop: Header=BB4_43 Depth=2
	s_or_b64 exec, exec, s[24:25]
	s_and_b64 s[24:25], exec, s[22:23]
	s_or_b64 s[18:19], s[24:25], s[18:19]
	s_andn2_b64 s[0:1], s[0:1], exec
	s_and_b64 s[24:25], s[20:21], exec
	v_mov_b32_e32 v32, s27
	s_or_b64 s[0:1], s[0:1], s[24:25]
	s_mov_b32 s27, s28
	s_andn2_b64 exec, exec, s[18:19]
	s_cbranch_execz .LBB4_45
.LBB4_43:                               ;   Parent Loop BB4_41 Depth=1
                                        ; =>  This Inner Loop Header: Depth=2
	global_load_dword v11, v[22:23], off
	v_mov_b32_e32 v20, v22
	v_mov_b32_e32 v21, v23
	s_or_b64 s[20:21], s[20:21], exec
	s_or_b64 s[22:23], s[22:23], exec
                                        ; implicit-def: $sgpr28
                                        ; implicit-def: $vgpr22_vgpr23
	s_waitcnt vmcnt(0)
	v_cmp_neq_f32_e32 vcc, v31, v11
	s_and_saveexec_b64 s[24:25], vcc
	s_cbranch_execz .LBB4_42
; %bb.44:                               ;   in Loop: Header=BB4_43 Depth=2
	v_add_co_u32_e32 v22, vcc, 4, v20
	s_add_i32 s28, s27, 1
	v_addc_co_u32_e32 v23, vcc, 0, v21, vcc
	v_cmp_eq_u32_e32 vcc, s28, v9
	s_andn2_b64 s[22:23], s[22:23], exec
	s_and_b64 s[30:31], vcc, exec
	s_andn2_b64 s[20:21], s[20:21], exec
	s_or_b64 s[22:23], s[22:23], s[30:31]
	s_branch .LBB4_42
.LBB4_45:                               ;   in Loop: Header=BB4_41 Depth=1
	s_or_b64 exec, exec, s[18:19]
	s_and_saveexec_b64 s[18:19], s[0:1]
	s_xor_b64 s[18:19], exec, s[18:19]
	s_cbranch_execz .LBB4_40
; %bb.46:                               ;   in Loop: Header=BB4_41 Depth=1
	v_cmp_eq_u32_e32 vcc, v32, v30
	v_cndmask_b32_e32 v21, v21, v29, vcc
	v_cndmask_b32_e32 v20, v20, v8, vcc
	global_load_dword v22, v[20:21], off offset:4
	global_load_dword v23, v[16:17], off
	s_andn2_b64 vcc, exec, s[2:3]
	s_waitcnt vmcnt(1)
	v_sub_f32_e32 v11, v22, v11
	v_fma_f32 v32, 0.5, v11, v31
	s_waitcnt vmcnt(0)
	v_sub_f32_e32 v20, v23, v32
	v_cmp_le_f32_e64 s[0:1], v20, v25
	v_cndmask_b32_e64 v11, 0, 1, s[0:1]
	s_cbranch_vccnz .LBB4_49
; %bb.47:                               ;   in Loop: Header=BB4_41 Depth=1
	v_cmp_gt_f32_e64 s[20:21], v20, -v25
	s_and_b64 s[0:1], s[0:1], s[20:21]
	v_cndmask_b32_e64 v33, v20, -v25, s[0:1]
	v_mov_b32_e32 v21, v19
	v_mov_b32_e32 v23, v15
	;; [unrolled: 1-line block ×4, first 2 shown]
	s_mov_b32 s20, s26
.LBB4_48:                               ;   Parent Loop BB4_41 Depth=1
                                        ; =>  This Inner Loop Header: Depth=2
	global_load_dword v34, v[20:21], off
	global_load_dword v35, v[22:23], off
	s_add_i32 s20, s20, -1
	s_waitcnt vmcnt(1)
	v_div_scale_f32 v36, s[0:1], v33, v33, v34
	v_div_scale_f32 v37, vcc, v34, v33, v34
	s_waitcnt vmcnt(0)
	v_sub_f32_e32 v35, v35, v32
	v_rcp_f32_e32 v38, v36
	v_fma_f32 v39, -v36, v38, 1.0
	v_fmac_f32_e32 v38, v39, v38
	v_mul_f32_e32 v39, v37, v38
	v_fma_f32 v40, -v36, v39, v37
	v_fmac_f32_e32 v39, v40, v38
	v_fma_f32 v36, -v36, v39, v37
	v_div_fmas_f32 v36, v36, v38, v39
	v_add_co_u32_e32 v22, vcc, 4, v22
	v_addc_co_u32_e32 v23, vcc, 0, v23, vcc
	v_add_co_u32_e32 v20, vcc, 4, v20
	v_addc_co_u32_e32 v21, vcc, 0, v21, vcc
	v_div_fixup_f32 v33, v36, v33, v34
	v_sub_f32_e32 v33, v35, v33
	v_cmp_le_f32_e32 vcc, v33, v25
	v_cmp_gt_f32_e64 s[22:23], v33, -v25
	v_addc_co_u32_e64 v11, s[0:1], 0, v11, vcc
	s_and_b64 s[0:1], vcc, s[22:23]
	s_cmp_lg_u32 s20, 0
	v_cndmask_b32_e64 v33, v33, -v25, s[0:1]
	s_cbranch_scc1 .LBB4_48
.LBB4_49:                               ;   in Loop: Header=BB4_41 Depth=1
	v_cmp_le_i32_e32 vcc, s39, v11
	v_cmp_ge_i32_e64 s[0:1], s33, v11
	s_and_b64 s[20:21], vcc, s[0:1]
	s_and_saveexec_b64 s[0:1], s[20:21]
	s_cbranch_execz .LBB4_39
; %bb.50:                               ;   in Loop: Header=BB4_41 Depth=1
	v_mov_b32_e32 v11, s15
	v_add_co_u32_e32 v20, vcc, s14, v27
	v_addc_co_u32_e32 v21, vcc, v28, v11, vcc
	global_load_dword v32, v[20:21], off
	v_ashrrev_i32_e32 v11, 31, v10
	v_lshlrev_b64 v[20:21], 2, v[10:11]
	v_add_u32_e32 v10, 1, v10
	v_add_co_u32_e32 v22, vcc, v0, v20
	v_addc_co_u32_e32 v23, vcc, v1, v21, vcc
	v_add_co_u32_e32 v20, vcc, v2, v20
	v_addc_co_u32_e32 v21, vcc, v3, v21, vcc
	global_store_dword v[22:23], v31, off
	s_waitcnt vmcnt(1)
	global_store_dword v[20:21], v32, off
	s_branch .LBB4_39
.LBB4_51:
	s_or_b64 exec, exec, s[4:5]
.LBB4_52:
	s_or_b64 exec, exec, s[6:7]
.LBB4_53:
	v_mov_b32_e32 v8, s9
	v_add_co_u32_e32 v4, vcc, s8, v4
	v_addc_co_u32_e32 v5, vcc, v8, v5, vcc
	s_cmpk_eq_i32 s37, 0xf2
	s_cselect_b64 s[0:1], -1, 0
	v_cmp_lt_i32_e32 vcc, 1, v10
	s_mov_b32 s2, 1
	s_and_b64 s[0:1], s[0:1], vcc
	global_store_dword v[4:5], v10, off
	s_and_b64 exec, exec, s[0:1]
	s_cbranch_execz .LBB4_61
; %bb.54:
	v_mov_b32_e32 v4, s13
	v_add_co_u32_e32 v5, vcc, s12, v6
	s_cmp_lg_u64 s[16:17], 0
	v_addc_co_u32_e32 v6, vcc, v4, v7, vcc
	v_add_co_u32_e32 v4, vcc, 4, v5
	s_cselect_b64 s[0:1], -1, 0
	v_addc_co_u32_e32 v5, vcc, 0, v6, vcc
	v_cndmask_b32_e64 v6, 0, 1, s[0:1]
	s_mov_b64 s[4:5], 0
	v_cmp_ne_u32_e64 s[0:1], 1, v6
	s_branch .LBB4_56
.LBB4_55:                               ;   in Loop: Header=BB4_56 Depth=1
	s_or_b64 exec, exec, s[8:9]
	s_add_i32 s2, s2, 1
	v_cmp_eq_u32_e32 vcc, s2, v10
	s_or_b64 s[4:5], vcc, s[4:5]
	v_add_co_u32_e32 v4, vcc, 4, v4
	v_addc_co_u32_e32 v5, vcc, 0, v5, vcc
	s_andn2_b64 exec, exec, s[4:5]
	s_cbranch_execz .LBB4_61
.LBB4_56:                               ; =>This Loop Header: Depth=1
                                        ;     Child Loop BB4_57 Depth 2
	s_ashr_i32 s3, s2, 31
	s_lshl_b64 s[6:7], s[2:3], 2
	v_mov_b32_e32 v7, s7
	v_add_co_u32_e32 v6, vcc, s6, v0
	v_addc_co_u32_e32 v7, vcc, v1, v7, vcc
	global_load_dword v13, v[6:7], off offset:-4
	s_add_i32 s3, s2, -1
	v_mov_b32_e32 v12, v5
	v_mov_b32_e32 v8, s3
	s_mov_b64 s[8:9], 0
	v_mov_b32_e32 v11, v4
	s_mov_b32 s10, s2
	s_waitcnt vmcnt(0)
	v_mov_b32_e32 v14, v13
.LBB4_57:                               ;   Parent Loop BB4_56 Depth=1
                                        ; =>  This Inner Loop Header: Depth=2
	global_load_dword v9, v[11:12], off
	v_add_co_u32_e32 v11, vcc, 4, v11
	v_mov_b32_e32 v15, s10
	s_add_i32 s10, s10, 1
	v_addc_co_u32_e32 v12, vcc, 0, v12, vcc
	v_cmp_eq_u32_e32 vcc, s10, v10
	s_or_b64 s[8:9], vcc, s[8:9]
	s_waitcnt vmcnt(0)
	v_cmp_lt_f32_e32 vcc, v9, v14
	v_cndmask_b32_e32 v14, v14, v9, vcc
	v_cndmask_b32_e32 v8, v8, v15, vcc
	s_andn2_b64 exec, exec, s[8:9]
	s_cbranch_execnz .LBB4_57
; %bb.58:                               ;   in Loop: Header=BB4_56 Depth=1
	s_or_b64 exec, exec, s[8:9]
	v_cmp_ne_u32_e32 vcc, s3, v8
	s_and_saveexec_b64 s[8:9], vcc
	s_cbranch_execz .LBB4_55
; %bb.59:                               ;   in Loop: Header=BB4_56 Depth=1
	v_ashrrev_i32_e32 v9, 31, v8
	v_lshlrev_b64 v[8:9], 2, v[8:9]
	v_add_co_u32_e32 v11, vcc, v0, v8
	v_addc_co_u32_e32 v12, vcc, v1, v9, vcc
	s_and_b64 vcc, exec, s[0:1]
	global_store_dword v[11:12], v13, off
	global_store_dword v[6:7], v14, off offset:-4
	s_cbranch_vccnz .LBB4_55
; %bb.60:                               ;   in Loop: Header=BB4_56 Depth=1
	v_mov_b32_e32 v7, s7
	v_add_co_u32_e32 v6, vcc, s6, v2
	v_addc_co_u32_e32 v7, vcc, v3, v7, vcc
	v_add_co_u32_e32 v8, vcc, v2, v8
	v_addc_co_u32_e32 v9, vcc, v3, v9, vcc
	global_load_dword v11, v[6:7], off offset:-4
	global_load_dword v12, v[8:9], off
	s_waitcnt vmcnt(1)
	global_store_dword v[8:9], v11, off
	s_waitcnt vmcnt(1)
	global_store_dword v[6:7], v12, off offset:-4
	s_branch .LBB4_55
.LBB4_61:
	s_endpgm
	.section	.rodata,"a",@progbits
	.p2align	6, 0x0
	.amdhsa_kernel _ZN9rocsolver6v33100L22stebz_synthesis_kernelIfPfEEv15rocblas_erange_15rocblas_eorder_iiiT0_iiPiS6_PT_lS6_lS6_liS6_S8_S8_S8_S8_S6_S7_
		.amdhsa_group_segment_fixed_size 0
		.amdhsa_private_segment_fixed_size 0
		.amdhsa_kernarg_size 424
		.amdhsa_user_sgpr_count 6
		.amdhsa_user_sgpr_private_segment_buffer 1
		.amdhsa_user_sgpr_dispatch_ptr 0
		.amdhsa_user_sgpr_queue_ptr 0
		.amdhsa_user_sgpr_kernarg_segment_ptr 1
		.amdhsa_user_sgpr_dispatch_id 0
		.amdhsa_user_sgpr_flat_scratch_init 0
		.amdhsa_user_sgpr_private_segment_size 0
		.amdhsa_uses_dynamic_stack 0
		.amdhsa_system_sgpr_private_segment_wavefront_offset 0
		.amdhsa_system_sgpr_workgroup_id_x 1
		.amdhsa_system_sgpr_workgroup_id_y 0
		.amdhsa_system_sgpr_workgroup_id_z 0
		.amdhsa_system_sgpr_workgroup_info 0
		.amdhsa_system_vgpr_workitem_id 0
		.amdhsa_next_free_vgpr 42
		.amdhsa_next_free_sgpr 40
		.amdhsa_reserve_vcc 1
		.amdhsa_reserve_flat_scratch 0
		.amdhsa_float_round_mode_32 0
		.amdhsa_float_round_mode_16_64 0
		.amdhsa_float_denorm_mode_32 3
		.amdhsa_float_denorm_mode_16_64 3
		.amdhsa_dx10_clamp 1
		.amdhsa_ieee_mode 1
		.amdhsa_fp16_overflow 0
		.amdhsa_exception_fp_ieee_invalid_op 0
		.amdhsa_exception_fp_denorm_src 0
		.amdhsa_exception_fp_ieee_div_zero 0
		.amdhsa_exception_fp_ieee_overflow 0
		.amdhsa_exception_fp_ieee_underflow 0
		.amdhsa_exception_fp_ieee_inexact 0
		.amdhsa_exception_int_div_zero 0
	.end_amdhsa_kernel
	.section	.text._ZN9rocsolver6v33100L22stebz_synthesis_kernelIfPfEEv15rocblas_erange_15rocblas_eorder_iiiT0_iiPiS6_PT_lS6_lS6_liS6_S8_S8_S8_S8_S6_S7_,"axG",@progbits,_ZN9rocsolver6v33100L22stebz_synthesis_kernelIfPfEEv15rocblas_erange_15rocblas_eorder_iiiT0_iiPiS6_PT_lS6_lS6_liS6_S8_S8_S8_S8_S6_S7_,comdat
.Lfunc_end4:
	.size	_ZN9rocsolver6v33100L22stebz_synthesis_kernelIfPfEEv15rocblas_erange_15rocblas_eorder_iiiT0_iiPiS6_PT_lS6_lS6_liS6_S8_S8_S8_S8_S6_S7_, .Lfunc_end4-_ZN9rocsolver6v33100L22stebz_synthesis_kernelIfPfEEv15rocblas_erange_15rocblas_eorder_iiiT0_iiPiS6_PT_lS6_lS6_liS6_S8_S8_S8_S8_S6_S7_
                                        ; -- End function
	.set _ZN9rocsolver6v33100L22stebz_synthesis_kernelIfPfEEv15rocblas_erange_15rocblas_eorder_iiiT0_iiPiS6_PT_lS6_lS6_liS6_S8_S8_S8_S8_S6_S7_.num_vgpr, 42
	.set _ZN9rocsolver6v33100L22stebz_synthesis_kernelIfPfEEv15rocblas_erange_15rocblas_eorder_iiiT0_iiPiS6_PT_lS6_lS6_liS6_S8_S8_S8_S8_S6_S7_.num_agpr, 0
	.set _ZN9rocsolver6v33100L22stebz_synthesis_kernelIfPfEEv15rocblas_erange_15rocblas_eorder_iiiT0_iiPiS6_PT_lS6_lS6_liS6_S8_S8_S8_S8_S6_S7_.numbered_sgpr, 40
	.set _ZN9rocsolver6v33100L22stebz_synthesis_kernelIfPfEEv15rocblas_erange_15rocblas_eorder_iiiT0_iiPiS6_PT_lS6_lS6_liS6_S8_S8_S8_S8_S6_S7_.num_named_barrier, 0
	.set _ZN9rocsolver6v33100L22stebz_synthesis_kernelIfPfEEv15rocblas_erange_15rocblas_eorder_iiiT0_iiPiS6_PT_lS6_lS6_liS6_S8_S8_S8_S8_S6_S7_.private_seg_size, 0
	.set _ZN9rocsolver6v33100L22stebz_synthesis_kernelIfPfEEv15rocblas_erange_15rocblas_eorder_iiiT0_iiPiS6_PT_lS6_lS6_liS6_S8_S8_S8_S8_S6_S7_.uses_vcc, 1
	.set _ZN9rocsolver6v33100L22stebz_synthesis_kernelIfPfEEv15rocblas_erange_15rocblas_eorder_iiiT0_iiPiS6_PT_lS6_lS6_liS6_S8_S8_S8_S8_S6_S7_.uses_flat_scratch, 0
	.set _ZN9rocsolver6v33100L22stebz_synthesis_kernelIfPfEEv15rocblas_erange_15rocblas_eorder_iiiT0_iiPiS6_PT_lS6_lS6_liS6_S8_S8_S8_S8_S6_S7_.has_dyn_sized_stack, 0
	.set _ZN9rocsolver6v33100L22stebz_synthesis_kernelIfPfEEv15rocblas_erange_15rocblas_eorder_iiiT0_iiPiS6_PT_lS6_lS6_liS6_S8_S8_S8_S8_S6_S7_.has_recursion, 0
	.set _ZN9rocsolver6v33100L22stebz_synthesis_kernelIfPfEEv15rocblas_erange_15rocblas_eorder_iiiT0_iiPiS6_PT_lS6_lS6_liS6_S8_S8_S8_S8_S6_S7_.has_indirect_call, 0
	.section	.AMDGPU.csdata,"",@progbits
; Kernel info:
; codeLenInByte = 2772
; TotalNumSgprs: 44
; NumVgprs: 42
; ScratchSize: 0
; MemoryBound: 0
; FloatMode: 240
; IeeeMode: 1
; LDSByteSize: 0 bytes/workgroup (compile time only)
; SGPRBlocks: 5
; VGPRBlocks: 10
; NumSGPRsForWavesPerEU: 44
; NumVGPRsForWavesPerEU: 42
; Occupancy: 5
; WaveLimiterHint : 1
; COMPUTE_PGM_RSRC2:SCRATCH_EN: 0
; COMPUTE_PGM_RSRC2:USER_SGPR: 6
; COMPUTE_PGM_RSRC2:TRAP_HANDLER: 0
; COMPUTE_PGM_RSRC2:TGID_X_EN: 1
; COMPUTE_PGM_RSRC2:TGID_Y_EN: 0
; COMPUTE_PGM_RSRC2:TGID_Z_EN: 0
; COMPUTE_PGM_RSRC2:TIDIG_COMP_CNT: 0
	.section	.text._ZN9rocsolver6v33100L18stebz_case1_kernelIdPdEEv15rocblas_erange_T_S4_T0_ilPiS6_PS4_lS6_lS6_li,"axG",@progbits,_ZN9rocsolver6v33100L18stebz_case1_kernelIdPdEEv15rocblas_erange_T_S4_T0_ilPiS6_PS4_lS6_lS6_li,comdat
	.globl	_ZN9rocsolver6v33100L18stebz_case1_kernelIdPdEEv15rocblas_erange_T_S4_T0_ilPiS6_PS4_lS6_lS6_li ; -- Begin function _ZN9rocsolver6v33100L18stebz_case1_kernelIdPdEEv15rocblas_erange_T_S4_T0_ilPiS6_PS4_lS6_lS6_li
	.p2align	8
	.type	_ZN9rocsolver6v33100L18stebz_case1_kernelIdPdEEv15rocblas_erange_T_S4_T0_ilPiS6_PS4_lS6_lS6_li,@function
_ZN9rocsolver6v33100L18stebz_case1_kernelIdPdEEv15rocblas_erange_T_S4_T0_ilPiS6_PS4_lS6_lS6_li: ; @_ZN9rocsolver6v33100L18stebz_case1_kernelIdPdEEv15rocblas_erange_T_S4_T0_ilPiS6_PS4_lS6_lS6_li
; %bb.0:
	s_load_dword s0, s[4:5], 0x84
	s_load_dword s1, s[4:5], 0x70
	s_waitcnt lgkmcnt(0)
	s_and_b32 s0, s0, 0xffff
	s_mul_i32 s6, s6, s0
	v_add_u32_e32 v0, s6, v0
	v_cmp_gt_i32_e32 vcc, s1, v0
	s_and_saveexec_b64 s[0:1], vcc
	s_cbranch_execz .LBB5_7
; %bb.1:
	s_load_dwordx16 s[8:23], s[4:5], 0x28
	s_load_dword s0, s[4:5], 0x20
	v_ashrrev_i32_e32 v1, 31, v0
	v_mov_b32_e32 v10, 1
	s_waitcnt lgkmcnt(0)
	v_mul_lo_u32 v4, s9, v0
	v_mul_lo_u32 v5, s8, v1
	v_mad_u64_u32 v[2:3], s[2:3], s8, v0, 0
	s_load_dwordx2 s[2:3], s[4:5], 0x18
	s_ashr_i32 s1, s0, 31
	v_add3_u32 v3, v3, v5, v4
	v_lshlrev_b64 v[2:3], 3, v[2:3]
	s_lshl_b64 s[0:1], s[0:1], 3
	s_waitcnt lgkmcnt(0)
	v_mov_b32_e32 v4, s3
	v_add_co_u32_e32 v2, vcc, s2, v2
	v_addc_co_u32_e32 v3, vcc, v4, v3, vcc
	v_mov_b32_e32 v4, s1
	v_add_co_u32_e32 v2, vcc, s0, v2
	v_addc_co_u32_e32 v3, vcc, v3, v4, vcc
	global_load_dwordx2 v[4:5], v[2:3], off
	s_load_dwordx2 s[0:1], s[4:5], 0x68
	v_mov_b32_e32 v9, s13
	s_waitcnt lgkmcnt(0)
	v_mul_lo_u32 v6, s1, v0
	v_mul_lo_u32 v7, s0, v1
	v_mad_u64_u32 v[2:3], s[0:1], s0, v0, 0
	s_load_dword s0, s[4:5], 0x0
	v_add3_u32 v3, v3, v7, v6
	v_lshlrev_b64 v[2:3], 2, v[2:3]
	v_mov_b32_e32 v7, s23
	v_add_co_u32_e32 v6, vcc, s22, v2
	v_addc_co_u32_e32 v7, vcc, v7, v3, vcc
	v_lshlrev_b64 v[2:3], 2, v[0:1]
	s_waitcnt lgkmcnt(0)
	s_cmpk_lg_i32 s0, 0xe8
	v_add_co_u32_e32 v8, vcc, s12, v2
	v_addc_co_u32_e32 v9, vcc, v9, v3, vcc
	s_cselect_b64 s[6:7], -1, 0
	s_and_b64 vcc, exec, s[6:7]
	global_store_dword v[8:9], v10, off
	global_store_dword v[6:7], v10, off
	s_cbranch_vccnz .LBB5_3
; %bb.2:
	s_load_dwordx4 s[0:3], s[4:5], 0x8
	s_andn2_b64 s[4:5], s[6:7], exec
	s_waitcnt vmcnt(2) lgkmcnt(0)
	v_cmp_nge_f64_e32 vcc, s[0:1], v[4:5]
	v_cmp_nlt_f64_e64 s[0:1], s[2:3], v[4:5]
	s_mov_b64 s[2:3], -1
	s_and_b64 s[0:1], vcc, s[0:1]
	s_and_b64 s[0:1], s[0:1], exec
	s_or_b64 s[6:7], s[4:5], s[0:1]
	s_and_saveexec_b64 s[0:1], s[6:7]
	s_xor_b64 s[0:1], exec, s[0:1]
	s_cbranch_execnz .LBB5_4
	s_branch .LBB5_5
.LBB5_3:
	s_mov_b64 s[2:3], 0
	s_and_saveexec_b64 s[0:1], s[6:7]
	s_xor_b64 s[0:1], exec, s[0:1]
	s_cbranch_execz .LBB5_5
.LBB5_4:
	v_mul_lo_u32 v8, s17, v0
	v_mul_lo_u32 v9, s16, v1
	v_mad_u64_u32 v[6:7], s[4:5], s16, v0, 0
	v_mul_lo_u32 v10, s20, v1
	s_andn2_b64 s[2:3], s[2:3], exec
	v_add3_u32 v7, v7, v9, v8
	v_mul_lo_u32 v9, s21, v0
	v_mad_u64_u32 v[0:1], s[4:5], s20, v0, 0
	v_lshlrev_b64 v[6:7], 3, v[6:7]
	v_mov_b32_e32 v8, s15
	v_add3_u32 v1, v1, v10, v9
	v_add_co_u32_e32 v6, vcc, s14, v6
	v_lshlrev_b64 v[0:1], 2, v[0:1]
	v_addc_co_u32_e32 v7, vcc, v8, v7, vcc
	v_mov_b32_e32 v8, s19
	v_add_co_u32_e32 v0, vcc, s18, v0
	v_addc_co_u32_e32 v1, vcc, v8, v1, vcc
	v_mov_b32_e32 v9, s11
	v_add_co_u32_e32 v8, vcc, s10, v2
	v_addc_co_u32_e32 v9, vcc, v9, v3, vcc
	v_mov_b32_e32 v10, 1
	global_store_dword v[8:9], v10, off
	s_waitcnt vmcnt(3)
	global_store_dwordx2 v[6:7], v[4:5], off
	global_store_dword v[0:1], v10, off
.LBB5_5:
	s_or_b64 exec, exec, s[0:1]
	s_and_b64 exec, exec, s[2:3]
	s_cbranch_execz .LBB5_7
; %bb.6:
	v_mov_b32_e32 v1, s11
	v_add_co_u32_e32 v0, vcc, s10, v2
	v_addc_co_u32_e32 v1, vcc, v1, v3, vcc
	v_mov_b32_e32 v2, 0
	global_store_dword v[0:1], v2, off
.LBB5_7:
	s_endpgm
	.section	.rodata,"a",@progbits
	.p2align	6, 0x0
	.amdhsa_kernel _ZN9rocsolver6v33100L18stebz_case1_kernelIdPdEEv15rocblas_erange_T_S4_T0_ilPiS6_PS4_lS6_lS6_li
		.amdhsa_group_segment_fixed_size 0
		.amdhsa_private_segment_fixed_size 0
		.amdhsa_kernarg_size 376
		.amdhsa_user_sgpr_count 6
		.amdhsa_user_sgpr_private_segment_buffer 1
		.amdhsa_user_sgpr_dispatch_ptr 0
		.amdhsa_user_sgpr_queue_ptr 0
		.amdhsa_user_sgpr_kernarg_segment_ptr 1
		.amdhsa_user_sgpr_dispatch_id 0
		.amdhsa_user_sgpr_flat_scratch_init 0
		.amdhsa_user_sgpr_private_segment_size 0
		.amdhsa_uses_dynamic_stack 0
		.amdhsa_system_sgpr_private_segment_wavefront_offset 0
		.amdhsa_system_sgpr_workgroup_id_x 1
		.amdhsa_system_sgpr_workgroup_id_y 0
		.amdhsa_system_sgpr_workgroup_id_z 0
		.amdhsa_system_sgpr_workgroup_info 0
		.amdhsa_system_vgpr_workitem_id 0
		.amdhsa_next_free_vgpr 11
		.amdhsa_next_free_sgpr 24
		.amdhsa_reserve_vcc 1
		.amdhsa_reserve_flat_scratch 0
		.amdhsa_float_round_mode_32 0
		.amdhsa_float_round_mode_16_64 0
		.amdhsa_float_denorm_mode_32 3
		.amdhsa_float_denorm_mode_16_64 3
		.amdhsa_dx10_clamp 1
		.amdhsa_ieee_mode 1
		.amdhsa_fp16_overflow 0
		.amdhsa_exception_fp_ieee_invalid_op 0
		.amdhsa_exception_fp_denorm_src 0
		.amdhsa_exception_fp_ieee_div_zero 0
		.amdhsa_exception_fp_ieee_overflow 0
		.amdhsa_exception_fp_ieee_underflow 0
		.amdhsa_exception_fp_ieee_inexact 0
		.amdhsa_exception_int_div_zero 0
	.end_amdhsa_kernel
	.section	.text._ZN9rocsolver6v33100L18stebz_case1_kernelIdPdEEv15rocblas_erange_T_S4_T0_ilPiS6_PS4_lS6_lS6_li,"axG",@progbits,_ZN9rocsolver6v33100L18stebz_case1_kernelIdPdEEv15rocblas_erange_T_S4_T0_ilPiS6_PS4_lS6_lS6_li,comdat
.Lfunc_end5:
	.size	_ZN9rocsolver6v33100L18stebz_case1_kernelIdPdEEv15rocblas_erange_T_S4_T0_ilPiS6_PS4_lS6_lS6_li, .Lfunc_end5-_ZN9rocsolver6v33100L18stebz_case1_kernelIdPdEEv15rocblas_erange_T_S4_T0_ilPiS6_PS4_lS6_lS6_li
                                        ; -- End function
	.set _ZN9rocsolver6v33100L18stebz_case1_kernelIdPdEEv15rocblas_erange_T_S4_T0_ilPiS6_PS4_lS6_lS6_li.num_vgpr, 11
	.set _ZN9rocsolver6v33100L18stebz_case1_kernelIdPdEEv15rocblas_erange_T_S4_T0_ilPiS6_PS4_lS6_lS6_li.num_agpr, 0
	.set _ZN9rocsolver6v33100L18stebz_case1_kernelIdPdEEv15rocblas_erange_T_S4_T0_ilPiS6_PS4_lS6_lS6_li.numbered_sgpr, 24
	.set _ZN9rocsolver6v33100L18stebz_case1_kernelIdPdEEv15rocblas_erange_T_S4_T0_ilPiS6_PS4_lS6_lS6_li.num_named_barrier, 0
	.set _ZN9rocsolver6v33100L18stebz_case1_kernelIdPdEEv15rocblas_erange_T_S4_T0_ilPiS6_PS4_lS6_lS6_li.private_seg_size, 0
	.set _ZN9rocsolver6v33100L18stebz_case1_kernelIdPdEEv15rocblas_erange_T_S4_T0_ilPiS6_PS4_lS6_lS6_li.uses_vcc, 1
	.set _ZN9rocsolver6v33100L18stebz_case1_kernelIdPdEEv15rocblas_erange_T_S4_T0_ilPiS6_PS4_lS6_lS6_li.uses_flat_scratch, 0
	.set _ZN9rocsolver6v33100L18stebz_case1_kernelIdPdEEv15rocblas_erange_T_S4_T0_ilPiS6_PS4_lS6_lS6_li.has_dyn_sized_stack, 0
	.set _ZN9rocsolver6v33100L18stebz_case1_kernelIdPdEEv15rocblas_erange_T_S4_T0_ilPiS6_PS4_lS6_lS6_li.has_recursion, 0
	.set _ZN9rocsolver6v33100L18stebz_case1_kernelIdPdEEv15rocblas_erange_T_S4_T0_ilPiS6_PS4_lS6_lS6_li.has_indirect_call, 0
	.section	.AMDGPU.csdata,"",@progbits
; Kernel info:
; codeLenInByte = 564
; TotalNumSgprs: 28
; NumVgprs: 11
; ScratchSize: 0
; MemoryBound: 0
; FloatMode: 240
; IeeeMode: 1
; LDSByteSize: 0 bytes/workgroup (compile time only)
; SGPRBlocks: 3
; VGPRBlocks: 2
; NumSGPRsForWavesPerEU: 28
; NumVGPRsForWavesPerEU: 11
; Occupancy: 10
; WaveLimiterHint : 0
; COMPUTE_PGM_RSRC2:SCRATCH_EN: 0
; COMPUTE_PGM_RSRC2:USER_SGPR: 6
; COMPUTE_PGM_RSRC2:TRAP_HANDLER: 0
; COMPUTE_PGM_RSRC2:TGID_X_EN: 1
; COMPUTE_PGM_RSRC2:TGID_Y_EN: 0
; COMPUTE_PGM_RSRC2:TGID_Z_EN: 0
; COMPUTE_PGM_RSRC2:TIDIG_COMP_CNT: 0
	.section	.text._ZN9rocsolver6v33100L22stebz_splitting_kernelIdPdEEv15rocblas_erange_iT_S4_iiT0_iiS5_iiPiPS4_lS6_lS6_S7_S7_S7_S7_S6_S4_S4_,"axG",@progbits,_ZN9rocsolver6v33100L22stebz_splitting_kernelIdPdEEv15rocblas_erange_iT_S4_iiT0_iiS5_iiPiPS4_lS6_lS6_S7_S7_S7_S7_S6_S4_S4_,comdat
	.globl	_ZN9rocsolver6v33100L22stebz_splitting_kernelIdPdEEv15rocblas_erange_iT_S4_iiT0_iiS5_iiPiPS4_lS6_lS6_S7_S7_S7_S7_S6_S4_S4_ ; -- Begin function _ZN9rocsolver6v33100L22stebz_splitting_kernelIdPdEEv15rocblas_erange_iT_S4_iiT0_iiS5_iiPiPS4_lS6_lS6_S7_S7_S7_S7_S6_S4_S4_
	.p2align	8
	.type	_ZN9rocsolver6v33100L22stebz_splitting_kernelIdPdEEv15rocblas_erange_iT_S4_iiT0_iiS5_iiPiPS4_lS6_lS6_S7_S7_S7_S7_S6_S4_S4_,@function
_ZN9rocsolver6v33100L22stebz_splitting_kernelIdPdEEv15rocblas_erange_iT_S4_iiT0_iiS5_iiPiPS4_lS6_lS6_S7_S7_S7_S7_S6_S4_S4_: ; @_ZN9rocsolver6v33100L22stebz_splitting_kernelIdPdEEv15rocblas_erange_iT_S4_iiT0_iiS5_iiPiPS4_lS6_lS6_S7_S7_S7_S7_S6_S4_S4_
; %bb.0:
	s_load_dwordx2 s[34:35], s[4:5], 0x0
	s_mov_b32 s40, s7
	v_mov_b32_e32 v3, 0
	v_add_u32_e32 v22, -1, v0
	s_waitcnt lgkmcnt(0)
	s_add_i32 s33, s35, -1
	s_ashr_i32 s0, s33, 31
	s_lshr_b32 s0, s0, 24
	s_add_i32 s0, s33, s0
	s_ashr_i32 s1, s0, 8
	s_and_b32 s0, s0, 0xffffff00
	s_sub_i32 s0, s33, s0
	v_mov_b32_e32 v1, s1
	v_cmp_gt_i32_e32 vcc, s0, v0
	v_addc_co_u32_e32 v23, vcc, 0, v1, vcc
	v_lshlrev_b32_e32 v1, 2, v0
	v_cmp_eq_u32_e64 s[0:1], 0, v0
	v_cmp_ne_u32_e32 vcc, 0, v0
	ds_write_b32 v1, v23 offset:2048
	s_waitcnt lgkmcnt(0)
	s_barrier
	s_and_saveexec_b64 s[6:7], vcc
	s_cbranch_execz .LBB6_10
; %bb.1:
	v_cmp_lt_u32_e64 s[2:3], 6, v22
	v_mov_b32_e32 v3, 0
	v_mov_b32_e32 v2, 0
	s_and_saveexec_b64 s[8:9], s[2:3]
	s_cbranch_execz .LBB6_5
; %bb.2:
	v_and_b32_e32 v2, 0xf8, v0
	s_mov_b32 s12, 0
	s_movk_i32 s13, 0x800
	s_mov_b64 s[10:11], 0
	v_mov_b32_e32 v3, 0
.LBB6_3:                                ; =>This Inner Loop Header: Depth=1
	v_mov_b32_e32 v8, s13
	ds_read_b128 v[4:7], v8
	ds_read_b128 v[8:11], v8 offset:16
	s_add_i32 s12, s12, 8
	s_add_i32 s13, s13, 32
	v_cmp_eq_u32_e64 s[2:3], s12, v2
	s_waitcnt lgkmcnt(1)
	v_add_u32_e32 v3, v4, v3
	v_add_u32_e32 v3, v5, v3
	;; [unrolled: 1-line block ×4, first 2 shown]
	s_waitcnt lgkmcnt(0)
	v_add_u32_e32 v3, v8, v3
	v_add_u32_e32 v3, v9, v3
	;; [unrolled: 1-line block ×3, first 2 shown]
	s_or_b64 s[10:11], s[2:3], s[10:11]
	v_add_u32_e32 v3, v11, v3
	s_andn2_b64 exec, exec, s[10:11]
	s_cbranch_execnz .LBB6_3
; %bb.4:
	s_or_b64 exec, exec, s[10:11]
.LBB6_5:
	s_or_b64 exec, exec, s[8:9]
	v_and_b32_e32 v4, 7, v0
	v_cmp_ne_u32_e64 s[2:3], 0, v4
	s_and_saveexec_b64 s[8:9], s[2:3]
	s_cbranch_execz .LBB6_9
; %bb.6:
	v_mov_b32_e32 v5, 0x800
	v_lshl_or_b32 v2, v2, 2, v5
	s_mov_b64 s[10:11], 0
.LBB6_7:                                ; =>This Inner Loop Header: Depth=1
	ds_read_b32 v5, v2
	v_add_u32_e32 v4, -1, v4
	v_cmp_eq_u32_e64 s[2:3], 0, v4
	v_add_u32_e32 v2, 4, v2
	s_or_b64 s[10:11], s[2:3], s[10:11]
	s_waitcnt lgkmcnt(0)
	v_add_u32_e32 v3, v5, v3
	s_andn2_b64 exec, exec, s[10:11]
	s_cbranch_execnz .LBB6_7
; %bb.8:
	s_or_b64 exec, exec, s[10:11]
.LBB6_9:
	s_or_b64 exec, exec, s[8:9]
.LBB6_10:
	s_or_b64 exec, exec, s[6:7]
	s_load_dwordx4 s[36:39], s[4:5], 0x20
	s_load_dwordx16 s[8:23], s[4:5], 0x40
	s_load_dwordx2 s[46:47], s[4:5], 0xa0
	s_load_dwordx8 s[24:31], s[4:5], 0x80
	s_mul_i32 s2, s35, s40
	s_waitcnt lgkmcnt(0)
	s_ashr_i32 s43, s38, 31
	s_mov_b32 s42, s38
	s_mul_i32 s38, s33, s40
	s_ashr_i32 s3, s2, 31
	s_ashr_i32 s41, s40, 31
	s_mul_hi_i32 s45, s39, s40
	s_mul_i32 s44, s39, s40
	s_ashr_i32 s39, s38, 31
	s_lshl_b64 s[2:3], s[2:3], 2
	v_ashrrev_i32_e32 v4, 31, v3
	v_or_b32_e32 v21, 0x800, v1
	s_add_u32 s2, s18, s2
	v_lshlrev_b64 v[1:2], 2, v[3:4]
	s_addc_u32 s3, s19, s3
	s_mul_hi_u32 s6, s12, s40
	s_mul_i32 s7, s12, s41
	v_mov_b32_e32 v5, s3
	v_add_co_u32_e64 v1, s[2:3], s2, v1
	s_add_i32 s6, s6, s7
	s_mul_i32 s7, s13, s40
	v_addc_co_u32_e64 v2, s[2:3], v5, v2, s[2:3]
	s_add_i32 s13, s6, s7
	s_mul_i32 s12, s12, s40
	v_mov_b32_e32 v5, 0
	v_cmp_lt_i32_e64 s[2:3], 0, v23
	s_and_saveexec_b64 s[6:7], s[2:3]
	s_cbranch_execz .LBB6_16
; %bb.11:
	s_load_dwordx4 s[48:51], s[4:5], 0x30
	v_lshlrev_b64 v[4:5], 3, v[3:4]
	v_mov_b32_e32 v15, s46
	v_mov_b32_e32 v16, s47
	s_waitcnt lgkmcnt(0)
	s_ashr_i32 s3, s50, 31
	s_mov_b32 s2, s50
	s_mul_hi_i32 s19, s40, s51
	s_mul_i32 s18, s40, s51
	s_lshl_b64 s[18:19], s[18:19], 3
	s_lshl_b64 s[2:3], s[2:3], 3
	s_add_u32 s2, s18, s2
	s_addc_u32 s3, s19, s3
	s_add_u32 s2, s48, s2
	s_addc_u32 s3, s49, s3
	v_mov_b32_e32 v6, s3
	v_add_co_u32_e64 v7, s[2:3], s2, v4
	v_addc_co_u32_e64 v8, s[2:3], v6, v5, s[2:3]
	s_lshl_b64 s[2:3], s[44:45], 3
	s_lshl_b64 s[18:19], s[42:43], 3
	s_add_u32 s2, s2, s18
	s_addc_u32 s3, s3, s19
	s_add_u32 s2, s36, s2
	s_addc_u32 s3, s37, s3
	v_mov_b32_e32 v6, s3
	v_add_co_u32_e64 v9, s[2:3], s2, v4
	v_addc_co_u32_e64 v10, s[2:3], v6, v5, s[2:3]
	s_lshl_b64 s[2:3], s[38:39], 3
	s_add_u32 s2, s22, s2
	s_addc_u32 s3, s23, s3
	v_mov_b32_e32 v6, s3
	v_add_co_u32_e64 v11, s[2:3], s2, v4
	v_addc_co_u32_e64 v12, s[2:3], v6, v5, s[2:3]
	s_lshl_b64 s[2:3], s[12:13], 3
	s_add_u32 s2, s10, s2
	s_addc_u32 s3, s11, s3
	v_mov_b32_e32 v6, s3
	v_add_co_u32_e64 v13, s[2:3], s2, v4
	v_addc_co_u32_e64 v14, s[2:3], v6, v5, s[2:3]
	v_mov_b32_e32 v5, 0
	s_mov_b64 s[18:19], 0
	s_branch .LBB6_13
.LBB6_12:                               ;   in Loop: Header=BB6_13 Depth=1
	s_or_b64 exec, exec, s[48:49]
	v_add_co_u32_e64 v7, s[2:3], 8, v7
	v_addc_co_u32_e64 v8, s[2:3], 0, v8, s[2:3]
	v_add_co_u32_e64 v9, s[2:3], 8, v9
	v_addc_co_u32_e64 v10, s[2:3], 0, v10, s[2:3]
	global_store_dwordx2 v[11:12], v[19:20], off
	global_store_dwordx2 v[13:14], v[17:18], off
	v_add_co_u32_e64 v11, s[2:3], 8, v11
	v_add_u32_e32 v23, -1, v23
	v_addc_co_u32_e64 v12, s[2:3], 0, v12, s[2:3]
	v_cmp_eq_u32_e64 s[2:3], 0, v23
	s_or_b64 s[18:19], s[2:3], s[18:19]
	v_add_co_u32_e64 v13, s[2:3], 8, v13
	v_add_u32_e32 v3, 1, v3
	v_addc_co_u32_e64 v14, s[2:3], 0, v14, s[2:3]
	s_andn2_b64 exec, exec, s[18:19]
	s_cbranch_execz .LBB6_15
.LBB6_13:                               ; =>This Inner Loop Header: Depth=1
	global_load_dwordx4 v[24:27], v[9:10], off
	global_load_dwordx2 v[17:18], v[7:8], off
	s_waitcnt vmcnt(1)
	v_mul_f64 v[19:20], v[24:25], v[26:27]
	v_mul_f64 v[24:25], s[30:31], |v[19:20]|
	s_waitcnt vmcnt(0)
	v_mul_f64 v[19:20], v[17:18], v[17:18]
	v_fma_f64 v[24:25], s[30:31], v[24:25], v[15:16]
	v_cmp_gt_f64_e64 s[2:3], v[24:25], v[19:20]
	s_and_saveexec_b64 s[48:49], s[2:3]
	s_cbranch_execz .LBB6_12
; %bb.14:                               ;   in Loop: Header=BB6_13 Depth=1
	v_ashrrev_i32_e32 v6, 31, v5
	v_add_u32_e32 v24, 1, v5
	v_lshlrev_b64 v[4:5], 2, v[5:6]
	v_mov_b32_e32 v19, 0
	v_add_co_u32_e64 v4, s[2:3], v1, v4
	v_addc_co_u32_e64 v5, s[2:3], v2, v5, s[2:3]
	v_mov_b32_e32 v17, 0
	global_store_dword v[4:5], v3, off
	v_mov_b32_e32 v20, 0
	v_mov_b32_e32 v18, 0
	;; [unrolled: 1-line block ×3, first 2 shown]
	s_branch .LBB6_12
.LBB6_15:
	s_or_b64 exec, exec, s[18:19]
.LBB6_16:
	s_or_b64 exec, exec, s[6:7]
	v_mov_b32_e32 v3, 0
	ds_write_b32 v21, v5
	s_waitcnt vmcnt(0) lgkmcnt(0)
	s_barrier
	s_and_saveexec_b64 s[2:3], vcc
	s_cbranch_execz .LBB6_26
; %bb.17:
	v_cmp_lt_u32_e32 vcc, 6, v22
	v_mov_b32_e32 v3, 0
	v_mov_b32_e32 v4, 0
	s_and_saveexec_b64 s[6:7], vcc
	s_cbranch_execz .LBB6_21
; %bb.18:
	v_and_b32_e32 v4, 0xf8, v0
	s_mov_b32 s48, 0
	s_movk_i32 s49, 0x800
	s_mov_b64 s[18:19], 0
	v_mov_b32_e32 v3, 0
.LBB6_19:                               ; =>This Inner Loop Header: Depth=1
	v_mov_b32_e32 v10, s49
	ds_read_b128 v[6:9], v10
	ds_read_b128 v[10:13], v10 offset:16
	s_add_i32 s48, s48, 8
	s_add_i32 s49, s49, 32
	v_cmp_eq_u32_e32 vcc, s48, v4
	s_waitcnt lgkmcnt(1)
	v_add_u32_e32 v3, v6, v3
	v_add_u32_e32 v3, v7, v3
	;; [unrolled: 1-line block ×4, first 2 shown]
	s_waitcnt lgkmcnt(0)
	v_add_u32_e32 v3, v10, v3
	v_add_u32_e32 v3, v11, v3
	;; [unrolled: 1-line block ×3, first 2 shown]
	s_or_b64 s[18:19], vcc, s[18:19]
	v_add_u32_e32 v3, v13, v3
	s_andn2_b64 exec, exec, s[18:19]
	s_cbranch_execnz .LBB6_19
; %bb.20:
	s_or_b64 exec, exec, s[18:19]
.LBB6_21:
	s_or_b64 exec, exec, s[6:7]
	v_and_b32_e32 v6, 7, v0
	v_cmp_ne_u32_e32 vcc, 0, v6
	s_and_saveexec_b64 s[6:7], vcc
	s_cbranch_execz .LBB6_25
; %bb.22:
	v_mov_b32_e32 v7, 0x800
	v_lshl_or_b32 v4, v4, 2, v7
	s_mov_b64 s[18:19], 0
.LBB6_23:                               ; =>This Inner Loop Header: Depth=1
	ds_read_b32 v7, v4
	v_add_u32_e32 v6, -1, v6
	v_cmp_eq_u32_e32 vcc, 0, v6
	v_add_u32_e32 v4, 4, v4
	s_or_b64 s[18:19], vcc, s[18:19]
	s_waitcnt lgkmcnt(0)
	v_add_u32_e32 v3, v7, v3
	s_andn2_b64 exec, exec, s[18:19]
	s_cbranch_execnz .LBB6_23
; %bb.24:
	s_or_b64 exec, exec, s[18:19]
.LBB6_25:
	s_or_b64 exec, exec, s[6:7]
.LBB6_26:
	s_or_b64 exec, exec, s[2:3]
	s_mul_i32 s2, s16, s41
	s_mul_hi_u32 s3, s16, s40
	s_add_i32 s2, s3, s2
	s_mul_i32 s3, s17, s40
	s_add_i32 s7, s2, s3
	s_mul_i32 s6, s16, s40
	v_cmp_lt_i32_e32 vcc, 0, v5
	s_and_saveexec_b64 s[2:3], vcc
	s_cbranch_execz .LBB6_29
; %bb.27:
	s_lshl_b64 s[16:17], s[6:7], 2
	v_ashrrev_i32_e32 v4, 31, v3
	v_lshlrev_b64 v[6:7], 2, v[3:4]
	s_add_u32 s16, s14, s16
	s_addc_u32 s17, s15, s17
	v_mov_b32_e32 v4, s17
	v_add_co_u32_e32 v6, vcc, s16, v6
	v_addc_co_u32_e32 v7, vcc, v4, v7, vcc
	s_mov_b64 s[16:17], 0
	v_mov_b32_e32 v4, v5
.LBB6_28:                               ; =>This Inner Loop Header: Depth=1
	global_load_dword v8, v[1:2], off
	v_add_co_u32_e32 v1, vcc, 4, v1
	v_add_u32_e32 v4, -1, v4
	v_addc_co_u32_e32 v2, vcc, 0, v2, vcc
	v_cmp_eq_u32_e32 vcc, 0, v4
	s_or_b64 s[16:17], vcc, s[16:17]
	s_waitcnt vmcnt(0)
	v_add_u32_e32 v8, 1, v8
	global_store_dword v[6:7], v8, off
	v_add_co_u32_e32 v6, vcc, 4, v6
	v_addc_co_u32_e32 v7, vcc, 0, v7, vcc
	s_andn2_b64 exec, exec, s[16:17]
	s_cbranch_execnz .LBB6_28
.LBB6_29:
	s_or_b64 exec, exec, s[2:3]
	s_movk_i32 s2, 0xff
	v_cmp_eq_u32_e64 s[2:3], s2, v0
	s_and_saveexec_b64 s[16:17], s[2:3]
	s_cbranch_execz .LBB6_31
; %bb.30:
	s_lshl_b64 s[18:19], s[40:41], 2
	s_add_u32 s8, s8, s18
	v_add_u32_e32 v1, v3, v5
	s_addc_u32 s9, s9, s19
	s_lshl_b64 s[6:7], s[6:7], 2
	v_ashrrev_i32_e32 v2, 31, v1
	s_add_u32 s6, s14, s6
	v_lshlrev_b64 v[2:3], 2, v[1:2]
	s_addc_u32 s7, s15, s7
	v_mov_b32_e32 v5, s7
	v_add_co_u32_e32 v2, vcc, s6, v2
	v_addc_co_u32_e32 v3, vcc, v5, v3, vcc
	v_mov_b32_e32 v5, s35
	v_mov_b32_e32 v4, 0
	v_add_u32_e32 v1, 1, v1
	global_store_dword v[2:3], v5, off
	global_store_dword v4, v1, s[8:9]
.LBB6_31:
	s_or_b64 exec, exec, s[16:17]
	v_mov_b32_e32 v1, 0
	v_cmp_gt_i32_e32 vcc, s33, v0
	v_mov_b32_e32 v2, 0
	v_bfrev_b32_e32 v6, -2
	v_lshlrev_b32_e32 v5, 3, v0
	s_waitcnt vmcnt(0)
	s_barrier
	s_and_saveexec_b64 s[8:9], vcc
	s_cbranch_execz .LBB6_35
; %bb.32:
	s_lshl_b64 s[6:7], s[38:39], 3
	s_add_u32 s6, s22, s6
	s_addc_u32 s7, s23, s7
	v_mov_b32_e32 v1, s7
	v_add_co_u32_e32 v3, vcc, s6, v5
	v_addc_co_u32_e32 v4, vcc, 0, v1, vcc
	v_mov_b32_e32 v1, 0
	v_mov_b32_e32 v2, 0
	v_bfrev_b32_e32 v6, -2
	s_mov_b64 s[14:15], 0
	s_brev_b32 s16, -2
	v_mov_b32_e32 v7, v0
.LBB6_33:                               ; =>This Inner Loop Header: Depth=1
	global_load_dwordx2 v[8:9], v[3:4], off
	v_add_co_u32_e32 v3, vcc, 0x800, v3
	v_cmp_eq_u32_e64 s[6:7], s16, v6
	v_add_u32_e32 v10, 1, v7
	v_add_u32_e32 v7, 0x100, v7
	v_addc_co_u32_e32 v4, vcc, 0, v4, vcc
	v_cmp_le_i32_e32 vcc, s33, v7
	s_waitcnt vmcnt(0)
	v_cmp_lt_f64_e64 s[18:19], v[1:2], |v[8:9]|
	v_and_b32_e32 v9, 0x7fffffff, v9
	s_or_b64 s[6:7], s[18:19], s[6:7]
	v_cndmask_b32_e64 v2, v2, v9, s[6:7]
	v_cndmask_b32_e64 v1, v1, v8, s[6:7]
	s_or_b64 s[14:15], vcc, s[14:15]
	v_cndmask_b32_e64 v6, v6, v10, s[6:7]
	s_andn2_b64 exec, exec, s[14:15]
	s_cbranch_execnz .LBB6_33
; %bb.34:
	s_or_b64 exec, exec, s[14:15]
.LBB6_35:
	s_or_b64 exec, exec, s[8:9]
	s_cmp_lt_i32 s35, 3
	ds_write_b64 v5, v[1:2]
	ds_write_b32 v21, v6
	s_waitcnt lgkmcnt(0)
	s_barrier
	s_cbranch_scc1 .LBB6_70
; %bb.36:
	s_movk_i32 s6, 0x80
	v_cmp_gt_u32_e32 vcc, s6, v0
	s_and_saveexec_b64 s[8:9], vcc
	s_cbranch_execz .LBB6_42
; %bb.37:
	ds_read_b64 v[3:4], v5 offset:1024
	ds_read_b32 v7, v21 offset:512
	s_waitcnt lgkmcnt(1)
	v_cmp_lt_f64_e64 s[14:15], v[1:2], v[3:4]
	v_cmp_nlt_f64_e32 vcc, v[1:2], v[3:4]
	s_and_saveexec_b64 s[16:17], vcc
	s_cbranch_execz .LBB6_39
; %bb.38:
	v_cmp_eq_f64_e32 vcc, v[1:2], v[3:4]
	s_waitcnt lgkmcnt(0)
	v_cmp_gt_i32_e64 s[6:7], v6, v7
	s_andn2_b64 s[14:15], s[14:15], exec
	s_and_b64 s[6:7], vcc, s[6:7]
	s_and_b64 s[6:7], s[6:7], exec
	s_or_b64 s[14:15], s[14:15], s[6:7]
.LBB6_39:
	s_or_b64 exec, exec, s[16:17]
	s_and_saveexec_b64 s[6:7], s[14:15]
	s_cbranch_execz .LBB6_41
; %bb.40:
	v_mov_b32_e32 v1, v3
	s_waitcnt lgkmcnt(0)
	v_mov_b32_e32 v6, v7
	v_mov_b32_e32 v2, v4
	ds_write_b64 v5, v[3:4]
	ds_write_b32 v21, v7
.LBB6_41:
	s_or_b64 exec, exec, s[6:7]
.LBB6_42:
	s_or_b64 exec, exec, s[8:9]
	v_cmp_gt_u32_e32 vcc, 64, v0
	s_waitcnt lgkmcnt(0)
	s_barrier
	s_and_saveexec_b64 s[14:15], vcc
	s_cbranch_execz .LBB6_69
; %bb.43:
	ds_read_b64 v[3:4], v5 offset:512
	ds_read_b32 v7, v21 offset:256
	s_waitcnt lgkmcnt(1)
	v_cmp_lt_f64_e64 s[8:9], v[1:2], v[3:4]
	v_cmp_nlt_f64_e32 vcc, v[1:2], v[3:4]
	s_and_saveexec_b64 s[16:17], vcc
	s_cbranch_execz .LBB6_45
; %bb.44:
	v_cmp_eq_f64_e32 vcc, v[1:2], v[3:4]
	s_waitcnt lgkmcnt(0)
	v_cmp_gt_i32_e64 s[6:7], v6, v7
	s_andn2_b64 s[8:9], s[8:9], exec
	s_and_b64 s[6:7], vcc, s[6:7]
	s_and_b64 s[6:7], s[6:7], exec
	s_or_b64 s[8:9], s[8:9], s[6:7]
.LBB6_45:
	s_or_b64 exec, exec, s[16:17]
	s_and_saveexec_b64 s[6:7], s[8:9]
	s_cbranch_execz .LBB6_47
; %bb.46:
	v_mov_b32_e32 v1, v3
	v_mov_b32_e32 v2, v4
	s_waitcnt lgkmcnt(0)
	v_mov_b32_e32 v6, v7
	ds_write_b64 v5, v[3:4]
	ds_write_b32 v21, v7
.LBB6_47:
	s_or_b64 exec, exec, s[6:7]
	ds_read_b64 v[3:4], v5 offset:256
	s_waitcnt lgkmcnt(1)
	ds_read_b32 v7, v21 offset:128
	s_waitcnt lgkmcnt(1)
	v_cmp_lt_f64_e64 s[8:9], v[1:2], v[3:4]
	v_cmp_nlt_f64_e32 vcc, v[1:2], v[3:4]
	s_and_saveexec_b64 s[16:17], vcc
	s_cbranch_execz .LBB6_49
; %bb.48:
	v_cmp_eq_f64_e32 vcc, v[1:2], v[3:4]
	s_waitcnt lgkmcnt(0)
	v_cmp_gt_i32_e64 s[6:7], v6, v7
	s_andn2_b64 s[8:9], s[8:9], exec
	s_and_b64 s[6:7], vcc, s[6:7]
	s_and_b64 s[6:7], s[6:7], exec
	s_or_b64 s[8:9], s[8:9], s[6:7]
.LBB6_49:
	s_or_b64 exec, exec, s[16:17]
	s_and_saveexec_b64 s[6:7], s[8:9]
	s_cbranch_execz .LBB6_51
; %bb.50:
	v_mov_b32_e32 v1, v3
	v_mov_b32_e32 v2, v4
	s_waitcnt lgkmcnt(0)
	v_mov_b32_e32 v6, v7
	ds_write_b64 v5, v[3:4]
	ds_write_b32 v21, v7
.LBB6_51:
	s_or_b64 exec, exec, s[6:7]
	ds_read_b64 v[3:4], v5 offset:128
	s_waitcnt lgkmcnt(1)
	;; [unrolled: 29-line block ×6, first 2 shown]
	ds_read_b32 v7, v21 offset:4
	s_waitcnt lgkmcnt(1)
	v_cmp_eq_f64_e32 vcc, v[1:2], v[3:4]
	v_cmp_lt_f64_e64 s[6:7], v[1:2], v[3:4]
	s_waitcnt lgkmcnt(0)
	v_cmp_gt_i32_e64 s[8:9], v6, v7
	s_and_b64 s[8:9], vcc, s[8:9]
	s_or_b64 s[6:7], s[6:7], s[8:9]
	s_and_b64 exec, exec, s[6:7]
	s_cbranch_execz .LBB6_69
; %bb.68:
	ds_write_b64 v5, v[3:4]
	ds_write_b32 v21, v7
.LBB6_69:
	s_or_b64 exec, exec, s[14:15]
.LBB6_70:
	v_mov_b32_e32 v1, 0
	s_waitcnt lgkmcnt(0)
	s_barrier
	ds_read_b64 v[1:2], v1
	s_load_dwordx4 s[48:51], s[4:5], 0x8
	v_mov_b32_e32 v5, s47
	v_mov_b32_e32 v7, s46
	s_mov_b64 s[18:19], -1
	s_waitcnt lgkmcnt(0)
	v_mul_f64 v[1:2], s[46:47], v[1:2]
	v_mov_b32_e32 v3, s50
	s_cmpk_lg_i32 s34, 0xe9
	v_mov_b32_e32 v4, s51
	v_cmp_gt_f64_e32 vcc, s[46:47], v[1:2]
	v_cndmask_b32_e32 v6, v2, v5, vcc
	v_cndmask_b32_e32 v5, v1, v7, vcc
	v_mov_b32_e32 v1, s48
	v_mov_b32_e32 v2, s49
	s_cbranch_scc1 .LBB6_119
; %bb.71:
	s_lshl_b64 s[44:45], s[44:45], 3
	s_add_u32 s6, s36, s44
	s_addc_u32 s7, s37, s45
	s_lshl_b64 s[42:43], s[42:43], 3
	s_add_u32 s46, s6, s42
	s_addc_u32 s47, s7, s43
	;; [unrolled: 3-line block ×4, first 2 shown]
	s_lshl_b32 s10, s35, 1
	s_mul_i32 s6, s10, s40
	s_ashr_i32 s7, s6, 31
	s_lshl_b64 s[16:17], s[6:7], 3
	s_add_u32 s8, s26, s16
	s_addc_u32 s9, s27, s17
	s_lshl_b64 s[12:13], s[6:7], 2
	s_add_u32 s14, s28, s12
	s_addc_u32 s15, s29, s13
	s_and_saveexec_b64 s[38:39], s[0:1]
	s_cbranch_execz .LBB6_79
; %bb.72:
	v_mov_b32_e32 v12, 0
	global_load_dwordx2 v[8:9], v12, s[46:47]
	global_load_dwordx2 v[3:4], v12, s[22:23]
	s_cmp_gt_i32 s35, 1
	s_cselect_b64 s[48:49], -1, 0
	s_cmp_lt_i32 s35, 2
	s_waitcnt vmcnt(0)
	v_add_f64 v[1:2], v[8:9], -|v[3:4]|
	v_and_b32_e32 v4, 0x7fffffff, v4
	v_add_f64 v[10:11], v[8:9], -v[1:2]
	v_cmp_le_f64_e32 vcc, v[10:11], v[5:6]
	v_cndmask_b32_e64 v7, 0, 1, vcc
	s_cbranch_scc1 .LBB6_75
; %bb.73:
	v_cmp_gt_f64_e64 s[6:7], v[10:11], -v[5:6]
	v_xor_b32_e32 v13, 0x80000000, v6
	s_mov_b64 s[50:51], s[18:19]
	s_mov_b32 s11, s33
	s_and_b64 vcc, vcc, s[6:7]
	s_add_u32 s6, s44, s42
	s_addc_u32 s7, s45, s43
	s_add_u32 s6, s36, s6
	s_addc_u32 s7, s37, s7
	s_add_u32 s52, s6, 8
	v_cndmask_b32_e32 v11, v11, v13, vcc
	v_cndmask_b32_e32 v10, v10, v5, vcc
	s_addc_u32 s53, s7, 0
.LBB6_74:                               ; =>This Inner Loop Header: Depth=1
	global_load_dwordx2 v[14:15], v12, s[50:51]
	global_load_dwordx2 v[16:17], v12, s[52:53]
	s_add_i32 s11, s11, -1
	s_waitcnt vmcnt(1)
	v_div_scale_f64 v[18:19], s[6:7], v[10:11], v[10:11], v[14:15]
	s_waitcnt vmcnt(0)
	v_add_f64 v[16:17], v[16:17], -v[1:2]
	v_rcp_f64_e32 v[20:21], v[18:19]
	v_fma_f64 v[22:23], -v[18:19], v[20:21], 1.0
	v_fma_f64 v[20:21], v[20:21], v[22:23], v[20:21]
	v_div_scale_f64 v[22:23], vcc, v[14:15], v[10:11], v[14:15]
	v_fma_f64 v[24:25], -v[18:19], v[20:21], 1.0
	v_fma_f64 v[20:21], v[20:21], v[24:25], v[20:21]
	v_mul_f64 v[24:25], v[22:23], v[20:21]
	v_fma_f64 v[18:19], -v[18:19], v[24:25], v[22:23]
	v_div_fmas_f64 v[18:19], v[18:19], v[20:21], v[24:25]
	v_div_fixup_f64 v[10:11], v[18:19], v[10:11], v[14:15]
	v_add_f64 v[10:11], v[16:17], -v[10:11]
	v_cmp_le_f64_e32 vcc, v[10:11], v[5:6]
	v_cmp_gt_f64_e64 s[54:55], v[10:11], -v[5:6]
	v_addc_co_u32_e64 v7, s[6:7], 0, v7, vcc
	s_and_b64 vcc, vcc, s[54:55]
	s_add_u32 s52, s52, 8
	s_addc_u32 s53, s53, 0
	s_add_u32 s50, s50, 8
	s_addc_u32 s51, s51, 0
	v_cndmask_b32_e32 v11, v11, v13, vcc
	s_cmp_lg_u32 s11, 0
	v_cndmask_b32_e32 v10, v10, v5, vcc
	s_cbranch_scc1 .LBB6_74
.LBB6_75:
	v_add_f64 v[3:4], v[8:9], v[3:4]
	s_andn2_b64 vcc, exec, s[48:49]
	v_add_f64 v[9:10], v[8:9], -v[3:4]
	v_cmp_le_f64_e64 s[6:7], v[9:10], v[5:6]
	v_cndmask_b32_e64 v8, 0, 1, s[6:7]
	s_cbranch_vccnz .LBB6_78
; %bb.76:
	v_cmp_gt_f64_e64 s[50:51], v[9:10], -v[5:6]
	v_xor_b32_e32 v11, 0x80000000, v6
	v_mov_b32_e32 v12, 0
	s_mov_b64 s[48:49], s[18:19]
	s_mov_b32 s11, s33
	s_and_b64 vcc, s[6:7], s[50:51]
	s_add_u32 s6, s44, s42
	s_addc_u32 s7, s45, s43
	s_add_u32 s6, s36, s6
	s_addc_u32 s7, s37, s7
	s_add_u32 s50, s6, 8
	v_cndmask_b32_e32 v10, v10, v11, vcc
	v_cndmask_b32_e32 v9, v9, v5, vcc
	s_addc_u32 s51, s7, 0
.LBB6_77:                               ; =>This Inner Loop Header: Depth=1
	global_load_dwordx2 v[13:14], v12, s[48:49]
	global_load_dwordx2 v[15:16], v12, s[50:51]
	s_add_i32 s11, s11, -1
	s_waitcnt vmcnt(1)
	v_div_scale_f64 v[17:18], s[6:7], v[9:10], v[9:10], v[13:14]
	s_waitcnt vmcnt(0)
	v_add_f64 v[15:16], v[15:16], -v[3:4]
	v_rcp_f64_e32 v[19:20], v[17:18]
	v_fma_f64 v[21:22], -v[17:18], v[19:20], 1.0
	v_fma_f64 v[19:20], v[19:20], v[21:22], v[19:20]
	v_div_scale_f64 v[21:22], vcc, v[13:14], v[9:10], v[13:14]
	v_fma_f64 v[23:24], -v[17:18], v[19:20], 1.0
	v_fma_f64 v[19:20], v[19:20], v[23:24], v[19:20]
	v_mul_f64 v[23:24], v[21:22], v[19:20]
	v_fma_f64 v[17:18], -v[17:18], v[23:24], v[21:22]
	v_div_fmas_f64 v[17:18], v[17:18], v[19:20], v[23:24]
	v_div_fixup_f64 v[9:10], v[17:18], v[9:10], v[13:14]
	v_add_f64 v[9:10], v[15:16], -v[9:10]
	v_cmp_le_f64_e32 vcc, v[9:10], v[5:6]
	v_cmp_gt_f64_e64 s[52:53], v[9:10], -v[5:6]
	v_addc_co_u32_e64 v8, s[6:7], 0, v8, vcc
	s_and_b64 vcc, vcc, s[52:53]
	s_add_u32 s50, s50, 8
	s_addc_u32 s51, s51, 0
	s_add_u32 s48, s48, 8
	s_addc_u32 s49, s49, 0
	v_cndmask_b32_e32 v10, v10, v11, vcc
	s_cmp_lg_u32 s11, 0
	v_cndmask_b32_e32 v9, v9, v5, vcc
	s_cbranch_scc1 .LBB6_77
.LBB6_78:
	v_mov_b32_e32 v9, 0
	global_store_dwordx4 v9, v[1:4], s[8:9]
	global_store_dwordx2 v9, v[7:8], s[14:15]
.LBB6_79:
	s_or_b64 exec, exec, s[38:39]
	v_add_u32_e32 v7, 1, v0
	v_cmp_gt_i32_e32 vcc, s33, v7
	s_and_saveexec_b64 s[38:39], vcc
	s_cbranch_execz .LBB6_86
; %bb.80:
	s_add_u32 s6, s44, s42
	s_addc_u32 s7, s45, s43
	s_add_u32 s6, s36, s6
	s_addc_u32 s7, s37, s7
	;; [unrolled: 2-line block ×3, first 2 shown]
	s_mov_b64 s[50:51], 0
	v_mov_b32_e32 v8, 0
	v_mov_b32_e32 v4, s47
	;; [unrolled: 1-line block ×3, first 2 shown]
	v_xor_b32_e32 v17, 0x80000000, v6
.LBB6_81:                               ; =>This Loop Header: Depth=1
                                        ;     Child Loop BB6_82 Depth 2
                                        ;     Child Loop BB6_84 Depth 2
	v_lshlrev_b64 v[0:1], 3, v[7:8]
	s_mov_b32 s11, 1
	v_add_co_u32_e32 v2, vcc, s22, v0
	v_addc_co_u32_e32 v3, vcc, v16, v1, vcc
	global_load_dwordx4 v[12:15], v[2:3], off offset:-8
	v_add_co_u32_e32 v0, vcc, s46, v0
	v_addc_co_u32_e32 v1, vcc, v4, v1, vcc
	global_load_dwordx2 v[2:3], v[0:1], off
	global_load_dwordx2 v[10:11], v8, s[46:47]
	s_mov_b64 s[52:53], s[18:19]
	s_mov_b64 s[54:55], s[48:49]
	s_waitcnt vmcnt(2)
	v_add_f64 v[12:13], |v[14:15]|, |v[12:13]|
	s_waitcnt vmcnt(1)
	v_add_f64 v[0:1], v[2:3], -v[12:13]
	s_waitcnt vmcnt(0)
	v_add_f64 v[14:15], v[10:11], -v[0:1]
	v_cmp_le_f64_e32 vcc, v[14:15], v[5:6]
	v_cmp_gt_f64_e64 s[6:7], v[14:15], -v[5:6]
	v_cndmask_b32_e64 v9, 0, 1, vcc
	s_and_b64 vcc, vcc, s[6:7]
	v_cndmask_b32_e32 v15, v15, v17, vcc
	v_cndmask_b32_e32 v14, v14, v5, vcc
.LBB6_82:                               ;   Parent Loop BB6_81 Depth=1
                                        ; =>  This Inner Loop Header: Depth=2
	global_load_dwordx2 v[18:19], v8, s[52:53]
	global_load_dwordx2 v[20:21], v8, s[54:55]
	s_add_i32 s11, s11, 1
	s_waitcnt vmcnt(1)
	v_div_scale_f64 v[22:23], s[6:7], v[14:15], v[14:15], v[18:19]
	s_waitcnt vmcnt(0)
	v_add_f64 v[20:21], v[20:21], -v[0:1]
	v_rcp_f64_e32 v[24:25], v[22:23]
	v_fma_f64 v[26:27], -v[22:23], v[24:25], 1.0
	v_fma_f64 v[24:25], v[24:25], v[26:27], v[24:25]
	v_div_scale_f64 v[26:27], vcc, v[18:19], v[14:15], v[18:19]
	v_fma_f64 v[28:29], -v[22:23], v[24:25], 1.0
	v_fma_f64 v[24:25], v[24:25], v[28:29], v[24:25]
	v_mul_f64 v[28:29], v[26:27], v[24:25]
	v_fma_f64 v[22:23], -v[22:23], v[28:29], v[26:27]
	v_div_fmas_f64 v[22:23], v[22:23], v[24:25], v[28:29]
	v_div_fixup_f64 v[14:15], v[22:23], v[14:15], v[18:19]
	v_add_f64 v[14:15], v[20:21], -v[14:15]
	v_cmp_le_f64_e32 vcc, v[14:15], v[5:6]
	v_cmp_gt_f64_e64 s[56:57], v[14:15], -v[5:6]
	v_addc_co_u32_e64 v9, s[6:7], 0, v9, vcc
	s_and_b64 vcc, vcc, s[56:57]
	s_add_u32 s54, s54, 8
	s_addc_u32 s55, s55, 0
	s_add_u32 s52, s52, 8
	s_addc_u32 s53, s53, 0
	v_cndmask_b32_e32 v15, v15, v17, vcc
	s_cmp_lg_u32 s35, s11
	v_cndmask_b32_e32 v14, v14, v5, vcc
	s_cbranch_scc1 .LBB6_82
; %bb.83:                               ;   in Loop: Header=BB6_81 Depth=1
	v_add_f64 v[2:3], v[2:3], v[12:13]
	s_mov_b64 s[52:53], s[18:19]
	s_mov_b64 s[54:55], s[48:49]
	s_mov_b32 s11, s33
	v_add_f64 v[11:12], v[10:11], -v[2:3]
	v_cmp_le_f64_e32 vcc, v[11:12], v[5:6]
	v_cmp_gt_f64_e64 s[6:7], v[11:12], -v[5:6]
	v_cndmask_b32_e64 v10, 0, 1, vcc
	s_and_b64 vcc, vcc, s[6:7]
	v_cndmask_b32_e32 v12, v12, v17, vcc
	v_cndmask_b32_e32 v11, v11, v5, vcc
.LBB6_84:                               ;   Parent Loop BB6_81 Depth=1
                                        ; =>  This Inner Loop Header: Depth=2
	global_load_dwordx2 v[13:14], v8, s[52:53]
	global_load_dwordx2 v[18:19], v8, s[54:55]
	s_add_i32 s11, s11, -1
	s_waitcnt vmcnt(1)
	v_div_scale_f64 v[20:21], s[6:7], v[11:12], v[11:12], v[13:14]
	s_waitcnt vmcnt(0)
	v_add_f64 v[18:19], v[18:19], -v[2:3]
	v_rcp_f64_e32 v[22:23], v[20:21]
	v_fma_f64 v[24:25], -v[20:21], v[22:23], 1.0
	v_fma_f64 v[22:23], v[22:23], v[24:25], v[22:23]
	v_div_scale_f64 v[24:25], vcc, v[13:14], v[11:12], v[13:14]
	v_fma_f64 v[26:27], -v[20:21], v[22:23], 1.0
	v_fma_f64 v[22:23], v[22:23], v[26:27], v[22:23]
	v_mul_f64 v[26:27], v[24:25], v[22:23]
	v_fma_f64 v[20:21], -v[20:21], v[26:27], v[24:25]
	v_div_fmas_f64 v[20:21], v[20:21], v[22:23], v[26:27]
	v_div_fixup_f64 v[11:12], v[20:21], v[11:12], v[13:14]
	v_add_f64 v[11:12], v[18:19], -v[11:12]
	v_cmp_le_f64_e32 vcc, v[11:12], v[5:6]
	v_cmp_gt_f64_e64 s[56:57], v[11:12], -v[5:6]
	v_addc_co_u32_e64 v10, s[6:7], 0, v10, vcc
	s_and_b64 vcc, vcc, s[56:57]
	s_add_u32 s54, s54, 8
	s_addc_u32 s55, s55, 0
	s_add_u32 s52, s52, 8
	s_addc_u32 s53, s53, 0
	v_cndmask_b32_e32 v12, v12, v17, vcc
	s_cmp_lg_u32 s11, 0
	v_cndmask_b32_e32 v11, v11, v5, vcc
	s_cbranch_scc1 .LBB6_84
; %bb.85:                               ;   in Loop: Header=BB6_81 Depth=1
	v_lshlrev_b32_e32 v11, 1, v7
	v_mov_b32_e32 v12, v8
	v_lshlrev_b64 v[13:14], 3, v[11:12]
	v_mov_b32_e32 v15, s9
	v_add_co_u32_e32 v13, vcc, s8, v13
	v_lshlrev_b64 v[11:12], 2, v[11:12]
	v_addc_co_u32_e32 v14, vcc, v15, v14, vcc
	v_mov_b32_e32 v15, s15
	v_add_co_u32_e32 v11, vcc, s14, v11
	v_addc_co_u32_e32 v12, vcc, v15, v12, vcc
	v_add_u32_e32 v7, 0x100, v7
	v_cmp_le_i32_e32 vcc, s33, v7
	s_or_b64 s[50:51], vcc, s[50:51]
	global_store_dwordx4 v[13:14], v[0:3], off
	global_store_dwordx2 v[11:12], v[9:10], off
	s_andn2_b64 exec, exec, s[50:51]
	s_cbranch_execnz .LBB6_81
.LBB6_86:
	s_or_b64 exec, exec, s[38:39]
	s_and_saveexec_b64 s[6:7], s[2:3]
	s_cbranch_execz .LBB6_94
; %bb.87:
	s_ashr_i32 s3, s35, 31
	s_mov_b32 s2, s35
	s_lshl_b64 s[2:3], s[2:3], 3
	s_add_u32 s38, s46, s2
	s_addc_u32 s39, s47, s3
	v_mov_b32_e32 v4, 0
	s_add_u32 s2, s22, s2
	s_addc_u32 s3, s23, s3
	global_load_dwordx2 v[2:3], v4, s[38:39] offset:-8
	global_load_dwordx2 v[8:9], v4, s[2:3] offset:-16
	global_load_dwordx2 v[10:11], v4, s[46:47]
	s_cmp_gt_i32 s35, 1
	s_cselect_b64 s[22:23], -1, 0
	s_cmp_lt_i32 s35, 2
	s_waitcnt vmcnt(1)
	v_add_f64 v[0:1], v[2:3], -|v[8:9]|
	v_and_b32_e32 v9, 0x7fffffff, v9
	s_waitcnt vmcnt(0)
	v_add_f64 v[12:13], v[10:11], -v[0:1]
	v_cmp_le_f64_e32 vcc, v[12:13], v[5:6]
	v_cndmask_b32_e64 v7, 0, 1, vcc
	s_cbranch_scc1 .LBB6_90
; %bb.88:
	v_cmp_gt_f64_e64 s[2:3], v[12:13], -v[5:6]
	v_xor_b32_e32 v14, 0x80000000, v6
	s_mov_b64 s[38:39], s[18:19]
	s_mov_b32 s11, s33
	s_and_b64 vcc, vcc, s[2:3]
	s_add_u32 s2, s44, s42
	s_addc_u32 s3, s45, s43
	s_add_u32 s2, s36, s2
	s_addc_u32 s3, s37, s3
	s_add_u32 s46, s2, 8
	v_cndmask_b32_e32 v13, v13, v14, vcc
	v_cndmask_b32_e32 v12, v12, v5, vcc
	s_addc_u32 s47, s3, 0
.LBB6_89:                               ; =>This Inner Loop Header: Depth=1
	global_load_dwordx2 v[15:16], v4, s[38:39]
	global_load_dwordx2 v[17:18], v4, s[46:47]
	s_add_i32 s11, s11, -1
	s_waitcnt vmcnt(1)
	v_div_scale_f64 v[19:20], s[2:3], v[12:13], v[12:13], v[15:16]
	s_waitcnt vmcnt(0)
	v_add_f64 v[17:18], v[17:18], -v[0:1]
	v_rcp_f64_e32 v[21:22], v[19:20]
	v_fma_f64 v[23:24], -v[19:20], v[21:22], 1.0
	v_fma_f64 v[21:22], v[21:22], v[23:24], v[21:22]
	v_div_scale_f64 v[23:24], vcc, v[15:16], v[12:13], v[15:16]
	v_fma_f64 v[25:26], -v[19:20], v[21:22], 1.0
	v_fma_f64 v[21:22], v[21:22], v[25:26], v[21:22]
	v_mul_f64 v[25:26], v[23:24], v[21:22]
	v_fma_f64 v[19:20], -v[19:20], v[25:26], v[23:24]
	v_div_fmas_f64 v[19:20], v[19:20], v[21:22], v[25:26]
	v_div_fixup_f64 v[12:13], v[19:20], v[12:13], v[15:16]
	v_add_f64 v[12:13], v[17:18], -v[12:13]
	v_cmp_le_f64_e32 vcc, v[12:13], v[5:6]
	v_cmp_gt_f64_e64 s[48:49], v[12:13], -v[5:6]
	v_addc_co_u32_e64 v7, s[2:3], 0, v7, vcc
	s_and_b64 vcc, vcc, s[48:49]
	s_add_u32 s46, s46, 8
	s_addc_u32 s47, s47, 0
	s_add_u32 s38, s38, 8
	s_addc_u32 s39, s39, 0
	v_cndmask_b32_e32 v13, v13, v14, vcc
	s_cmp_lg_u32 s11, 0
	v_cndmask_b32_e32 v12, v12, v5, vcc
	s_cbranch_scc1 .LBB6_89
.LBB6_90:
	v_add_f64 v[2:3], v[2:3], v[8:9]
	s_andn2_b64 vcc, exec, s[22:23]
	v_add_f64 v[9:10], v[10:11], -v[2:3]
	v_cmp_le_f64_e64 s[2:3], v[9:10], v[5:6]
	v_cndmask_b32_e64 v8, 0, 1, s[2:3]
	s_cbranch_vccnz .LBB6_93
; %bb.91:
	v_cmp_gt_f64_e64 s[22:23], v[9:10], -v[5:6]
	v_xor_b32_e32 v4, 0x80000000, v6
	v_mov_b32_e32 v11, 0
	s_and_b64 vcc, s[2:3], s[22:23]
	s_add_u32 s2, s44, s42
	s_addc_u32 s3, s45, s43
	s_add_u32 s2, s36, s2
	s_addc_u32 s3, s37, s3
	s_add_u32 s22, s2, 8
	v_cndmask_b32_e32 v10, v10, v4, vcc
	v_cndmask_b32_e32 v9, v9, v5, vcc
	s_addc_u32 s23, s3, 0
.LBB6_92:                               ; =>This Inner Loop Header: Depth=1
	global_load_dwordx2 v[12:13], v11, s[18:19]
	global_load_dwordx2 v[14:15], v11, s[22:23]
	s_add_i32 s33, s33, -1
	s_waitcnt vmcnt(1)
	v_div_scale_f64 v[16:17], s[2:3], v[9:10], v[9:10], v[12:13]
	s_waitcnt vmcnt(0)
	v_add_f64 v[14:15], v[14:15], -v[2:3]
	v_rcp_f64_e32 v[18:19], v[16:17]
	v_fma_f64 v[20:21], -v[16:17], v[18:19], 1.0
	v_fma_f64 v[18:19], v[18:19], v[20:21], v[18:19]
	v_div_scale_f64 v[20:21], vcc, v[12:13], v[9:10], v[12:13]
	v_fma_f64 v[22:23], -v[16:17], v[18:19], 1.0
	v_fma_f64 v[18:19], v[18:19], v[22:23], v[18:19]
	v_mul_f64 v[22:23], v[20:21], v[18:19]
	v_fma_f64 v[16:17], -v[16:17], v[22:23], v[20:21]
	v_div_fmas_f64 v[16:17], v[16:17], v[18:19], v[22:23]
	v_div_fixup_f64 v[9:10], v[16:17], v[9:10], v[12:13]
	v_add_f64 v[9:10], v[14:15], -v[9:10]
	v_cmp_le_f64_e32 vcc, v[9:10], v[5:6]
	v_cmp_gt_f64_e64 s[36:37], v[9:10], -v[5:6]
	v_addc_co_u32_e64 v8, s[2:3], 0, v8, vcc
	s_and_b64 vcc, vcc, s[36:37]
	s_add_u32 s22, s22, 8
	s_addc_u32 s23, s23, 0
	s_add_u32 s18, s18, 8
	s_addc_u32 s19, s19, 0
	v_cndmask_b32_e32 v10, v10, v4, vcc
	s_cmp_lg_u32 s33, 0
	v_cndmask_b32_e32 v9, v9, v5, vcc
	s_cbranch_scc1 .LBB6_92
.LBB6_93:
	s_ashr_i32 s11, s10, 31
	s_lshl_b64 s[2:3], s[10:11], 3
	s_add_u32 s2, s8, s2
	s_addc_u32 s3, s9, s3
	s_lshl_b64 s[18:19], s[10:11], 2
	v_mov_b32_e32 v4, 0
	s_add_u32 s18, s14, s18
	s_addc_u32 s19, s15, s19
	global_store_dwordx4 v4, v[0:3], s[2:3] offset:-16
	global_store_dwordx2 v4, v[7:8], s[18:19] offset:-8
.LBB6_94:
	s_or_b64 exec, exec, s[6:7]
	s_mov_b64 s[18:19], 0
	s_waitcnt vmcnt(0)
	s_barrier
                                        ; implicit-def: $vgpr3_vgpr4
                                        ; implicit-def: $vgpr1_vgpr2
	s_and_saveexec_b64 s[6:7], s[0:1]
	s_cbranch_execz .LBB6_118
; %bb.95:
	s_cmp_gt_i32 s35, 0
	s_cselect_b64 s[18:19], -1, 0
	s_cmp_lt_i32 s35, 1
	s_mov_b32 s22, 1
	s_cbranch_scc1 .LBB6_103
; %bb.96:
	s_cmp_lg_u64 s[28:29], 0
	s_cselect_b64 s[2:3], -1, 0
	s_add_u32 s11, s26, s16
	s_addc_u32 s17, s27, s17
	s_add_u32 s16, s11, 8
	v_cndmask_b32_e64 v0, 0, 1, s[2:3]
	s_addc_u32 s17, s17, 0
	v_mov_b32_e32 v4, 0
	v_cmp_ne_u32_e64 s[2:3], 1, v0
	s_branch .LBB6_98
.LBB6_97:                               ;   in Loop: Header=BB6_98 Depth=1
	s_add_i32 s22, s22, 1
	s_add_u32 s16, s16, 8
	s_addc_u32 s17, s17, 0
	s_cmp_lg_u32 s22, s10
	s_cbranch_scc0 .LBB6_103
.LBB6_98:                               ; =>This Loop Header: Depth=1
                                        ;     Child Loop BB6_99 Depth 2
	s_ashr_i32 s23, s22, 31
	s_add_i32 s11, s22, -1
	s_lshl_b64 s[26:27], s[22:23], 3
	s_add_u32 s36, s8, s26
	s_addc_u32 s37, s9, s27
	global_load_dwordx2 v[0:1], v4, s[36:37] offset:-8
	s_mov_b64 s[38:39], s[16:17]
	s_mov_b32 s27, s22
	s_mov_b32 s26, s11
	s_waitcnt vmcnt(0)
	v_mov_b32_e32 v3, v1
	v_mov_b32_e32 v2, v0
.LBB6_99:                               ;   Parent Loop BB6_98 Depth=1
                                        ; =>  This Inner Loop Header: Depth=2
	global_load_dwordx2 v[7:8], v4, s[38:39]
	s_waitcnt vmcnt(0)
	v_cmp_lt_f64_e32 vcc, v[7:8], v[2:3]
	s_and_b64 s[42:43], vcc, exec
	s_cselect_b32 s26, s27, s26
	s_add_i32 s27, s27, 1
	s_add_u32 s38, s38, 8
	s_addc_u32 s39, s39, 0
	v_cndmask_b32_e32 v3, v3, v8, vcc
	s_cmp_eq_u32 s10, s27
	v_cndmask_b32_e32 v2, v2, v7, vcc
	s_cbranch_scc0 .LBB6_99
; %bb.100:                              ;   in Loop: Header=BB6_98 Depth=1
	s_cmp_lg_u32 s26, s11
	s_cbranch_scc0 .LBB6_97
; %bb.101:                              ;   in Loop: Header=BB6_98 Depth=1
	s_ashr_i32 s27, s26, 31
	s_lshl_b64 s[38:39], s[26:27], 3
	s_add_u32 s38, s8, s38
	s_addc_u32 s39, s9, s39
	s_and_b64 vcc, exec, s[2:3]
	global_store_dwordx2 v4, v[0:1], s[38:39]
	global_store_dwordx2 v4, v[2:3], s[36:37] offset:-8
	s_cbranch_vccnz .LBB6_97
; %bb.102:                              ;   in Loop: Header=BB6_98 Depth=1
	s_lshl_b64 s[36:37], s[22:23], 2
	s_add_u32 s36, s14, s36
	s_addc_u32 s37, s15, s37
	s_lshl_b64 s[26:27], s[26:27], 2
	s_add_u32 s26, s14, s26
	s_addc_u32 s27, s15, s27
	global_load_dword v0, v4, s[36:37] offset:-4
	global_load_dword v1, v4, s[26:27]
	s_waitcnt vmcnt(1)
	global_store_dword v4, v0, s[26:27]
	s_waitcnt vmcnt(1)
	global_store_dword v4, v1, s[36:37] offset:-4
	s_branch .LBB6_97
.LBB6_103:
	s_ashr_i32 s11, s10, 31
	s_lshl_b64 s[2:3], s[10:11], 3
	v_mov_b32_e32 v0, 0
	s_add_u32 s14, s8, s2
	s_addc_u32 s15, s9, s3
	global_load_dwordx2 v[1:2], v0, s[8:9]
	global_load_dwordx2 v[3:4], v0, s[14:15] offset:-8
	v_cvt_f64_i32_e32 v[9:10], s35
	s_load_dwordx2 s[4:5], s[4:5], 0x18
	s_waitcnt vmcnt(0)
	v_cmp_lt_f64_e64 vcc, |v[1:2]|, |v[3:4]|
	v_cndmask_b32_e32 v8, v2, v4, vcc
	v_cndmask_b32_e32 v7, v1, v3, vcc
	v_mul_f64 v[7:8], s[30:31], |v[7:8]|
	s_andn2_b64 vcc, exec, s[18:19]
	v_fma_f64 v[1:2], -v[7:8], v[9:10], v[1:2]
	v_fma_f64 v[3:4], v[7:8], v[9:10], v[3:4]
	v_cndmask_b32_e64 v7, 0, 1, s[18:19]
	v_cmp_ne_u32_e64 s[2:3], 1, v7
	v_add_f64 v[1:2], v[1:2], -v[5:6]
	v_add_f64 v[3:4], v[5:6], v[3:4]
	global_store_dwordx2 v0, v[1:2], s[8:9]
	global_store_dwordx2 v0, v[3:4], s[14:15] offset:-8
	s_cbranch_vccnz .LBB6_109
; %bb.104:
	s_max_i32 s11, s10, 2
	s_add_i32 s11, s11, -1
	s_add_u32 s14, s28, s12
	s_addc_u32 s15, s29, s13
	s_add_u32 s14, s14, 4
	s_addc_u32 s15, s15, 0
	s_mov_b32 s17, 0
	s_branch .LBB6_106
.LBB6_105:                              ;   in Loop: Header=BB6_106 Depth=1
	s_add_i32 s17, s17, 1
	s_add_u32 s14, s14, 4
	s_addc_u32 s15, s15, 0
	s_cmp_eq_u32 s11, s17
	s_cselect_b64 s[18:19], -1, 0
	s_mov_b32 s16, s11
	s_andn2_b64 vcc, exec, s[18:19]
	s_cbranch_vccz .LBB6_108
.LBB6_106:                              ; =>This Inner Loop Header: Depth=1
	global_load_dword v1, v0, s[14:15]
	s_mov_b64 s[18:19], -1
	s_waitcnt vmcnt(0) lgkmcnt(0)
	v_cmp_le_i32_e32 vcc, s4, v1
	s_cbranch_vccz .LBB6_105
; %bb.107:                              ;   in Loop: Header=BB6_106 Depth=1
                                        ; implicit-def: $sgpr14_sgpr15
	s_mov_b32 s16, s17
	s_andn2_b64 vcc, exec, s[18:19]
	s_cbranch_vccnz .LBB6_106
.LBB6_108:
	s_mov_b32 s17, 0
	s_branch .LBB6_110
.LBB6_109:
	s_mov_b64 s[16:17], 0
.LBB6_110:
	s_lshl_b64 s[14:15], s[16:17], 3
	s_add_u32 s14, s8, s14
	s_addc_u32 s15, s9, s15
	v_mov_b32_e32 v0, 0
	global_load_dwordx2 v[1:2], v0, s[14:15]
	s_and_b64 vcc, exec, s[2:3]
	s_mov_b32 s14, 1
	s_cbranch_vccnz .LBB6_116
; %bb.111:
	s_max_i32 s15, s10, 2
	s_add_i32 s16, s15, -1
	s_add_u32 s2, s28, s12
	s_addc_u32 s3, s29, s13
	s_add_u32 s2, s2, 4
	s_addc_u32 s3, s3, 0
	s_branch .LBB6_113
.LBB6_112:                              ;   in Loop: Header=BB6_113 Depth=1
	s_mov_b32 s4, s14
                                        ; implicit-def: $sgpr2_sgpr3
	s_andn2_b64 vcc, exec, s[10:11]
	s_cbranch_vccz .LBB6_115
.LBB6_113:                              ; =>This Inner Loop Header: Depth=1
	global_load_dword v3, v0, s[2:3]
	s_mov_b64 s[10:11], -1
	s_waitcnt vmcnt(0) lgkmcnt(0)
	v_cmp_gt_i32_e32 vcc, s5, v3
	s_cbranch_vccz .LBB6_112
; %bb.114:                              ;   in Loop: Header=BB6_113 Depth=1
	s_add_i32 s14, s14, 1
	s_add_u32 s2, s2, 4
	s_addc_u32 s3, s3, 0
	s_cmp_eq_u32 s15, s14
	s_cselect_b64 s[10:11], -1, 0
	s_mov_b32 s4, s16
	s_andn2_b64 vcc, exec, s[10:11]
	s_cbranch_vccnz .LBB6_113
.LBB6_115:
	s_ashr_i32 s5, s4, 31
	s_branch .LBB6_117
.LBB6_116:
	s_waitcnt lgkmcnt(0)
	s_mov_b64 s[4:5], 0
.LBB6_117:
	s_lshl_b64 s[2:3], s[4:5], 3
	s_add_u32 s2, s8, s2
	s_addc_u32 s3, s9, s3
	v_mov_b32_e32 v0, 0
	global_load_dwordx2 v[3:4], v0, s[2:3]
	s_mov_b64 s[18:19], exec
.LBB6_118:
	s_or_b64 exec, exec, s[6:7]
.LBB6_119:
	s_and_saveexec_b64 s[2:3], s[18:19]
	s_cbranch_execz .LBB6_122
; %bb.120:
	s_and_b64 exec, exec, s[0:1]
	s_cbranch_execz .LBB6_122
; %bb.121:
	s_lshl_b64 s[0:1], s[40:41], 3
	s_add_u32 s0, s20, s0
	s_addc_u32 s1, s21, s1
	s_lshl_b32 s2, s40, 1
	s_ashr_i32 s3, s2, 31
	s_lshl_b64 s[2:3], s[2:3], 3
	s_add_u32 s2, s24, s2
	s_addc_u32 s3, s25, s3
	s_cmpk_eq_i32 s34, 0xe7
	v_mov_b32_e32 v0, 0
	s_cselect_b64 s[4:5], -1, 0
	s_waitcnt vmcnt(0)
	v_cndmask_b32_e64 v4, v4, 0, s[4:5]
	v_cndmask_b32_e64 v3, v3, 0, s[4:5]
	;; [unrolled: 1-line block ×4, first 2 shown]
	global_store_dwordx2 v0, v[5:6], s[0:1]
	global_store_dwordx4 v0, v[1:4], s[2:3]
.LBB6_122:
	s_endpgm
	.section	.rodata,"a",@progbits
	.p2align	6, 0x0
	.amdhsa_kernel _ZN9rocsolver6v33100L22stebz_splitting_kernelIdPdEEv15rocblas_erange_iT_S4_iiT0_iiS5_iiPiPS4_lS6_lS6_S7_S7_S7_S7_S6_S4_S4_
		.amdhsa_group_segment_fixed_size 3072
		.amdhsa_private_segment_fixed_size 0
		.amdhsa_kernarg_size 168
		.amdhsa_user_sgpr_count 6
		.amdhsa_user_sgpr_private_segment_buffer 1
		.amdhsa_user_sgpr_dispatch_ptr 0
		.amdhsa_user_sgpr_queue_ptr 0
		.amdhsa_user_sgpr_kernarg_segment_ptr 1
		.amdhsa_user_sgpr_dispatch_id 0
		.amdhsa_user_sgpr_flat_scratch_init 0
		.amdhsa_user_sgpr_private_segment_size 0
		.amdhsa_uses_dynamic_stack 0
		.amdhsa_system_sgpr_private_segment_wavefront_offset 0
		.amdhsa_system_sgpr_workgroup_id_x 1
		.amdhsa_system_sgpr_workgroup_id_y 1
		.amdhsa_system_sgpr_workgroup_id_z 0
		.amdhsa_system_sgpr_workgroup_info 0
		.amdhsa_system_vgpr_workitem_id 0
		.amdhsa_next_free_vgpr 30
		.amdhsa_next_free_sgpr 58
		.amdhsa_reserve_vcc 1
		.amdhsa_reserve_flat_scratch 0
		.amdhsa_float_round_mode_32 0
		.amdhsa_float_round_mode_16_64 0
		.amdhsa_float_denorm_mode_32 3
		.amdhsa_float_denorm_mode_16_64 3
		.amdhsa_dx10_clamp 1
		.amdhsa_ieee_mode 1
		.amdhsa_fp16_overflow 0
		.amdhsa_exception_fp_ieee_invalid_op 0
		.amdhsa_exception_fp_denorm_src 0
		.amdhsa_exception_fp_ieee_div_zero 0
		.amdhsa_exception_fp_ieee_overflow 0
		.amdhsa_exception_fp_ieee_underflow 0
		.amdhsa_exception_fp_ieee_inexact 0
		.amdhsa_exception_int_div_zero 0
	.end_amdhsa_kernel
	.section	.text._ZN9rocsolver6v33100L22stebz_splitting_kernelIdPdEEv15rocblas_erange_iT_S4_iiT0_iiS5_iiPiPS4_lS6_lS6_S7_S7_S7_S7_S6_S4_S4_,"axG",@progbits,_ZN9rocsolver6v33100L22stebz_splitting_kernelIdPdEEv15rocblas_erange_iT_S4_iiT0_iiS5_iiPiPS4_lS6_lS6_S7_S7_S7_S7_S6_S4_S4_,comdat
.Lfunc_end6:
	.size	_ZN9rocsolver6v33100L22stebz_splitting_kernelIdPdEEv15rocblas_erange_iT_S4_iiT0_iiS5_iiPiPS4_lS6_lS6_S7_S7_S7_S7_S6_S4_S4_, .Lfunc_end6-_ZN9rocsolver6v33100L22stebz_splitting_kernelIdPdEEv15rocblas_erange_iT_S4_iiT0_iiS5_iiPiPS4_lS6_lS6_S7_S7_S7_S7_S6_S4_S4_
                                        ; -- End function
	.set _ZN9rocsolver6v33100L22stebz_splitting_kernelIdPdEEv15rocblas_erange_iT_S4_iiT0_iiS5_iiPiPS4_lS6_lS6_S7_S7_S7_S7_S6_S4_S4_.num_vgpr, 30
	.set _ZN9rocsolver6v33100L22stebz_splitting_kernelIdPdEEv15rocblas_erange_iT_S4_iiT0_iiS5_iiPiPS4_lS6_lS6_S7_S7_S7_S7_S6_S4_S4_.num_agpr, 0
	.set _ZN9rocsolver6v33100L22stebz_splitting_kernelIdPdEEv15rocblas_erange_iT_S4_iiT0_iiS5_iiPiPS4_lS6_lS6_S7_S7_S7_S7_S6_S4_S4_.numbered_sgpr, 58
	.set _ZN9rocsolver6v33100L22stebz_splitting_kernelIdPdEEv15rocblas_erange_iT_S4_iiT0_iiS5_iiPiPS4_lS6_lS6_S7_S7_S7_S7_S6_S4_S4_.num_named_barrier, 0
	.set _ZN9rocsolver6v33100L22stebz_splitting_kernelIdPdEEv15rocblas_erange_iT_S4_iiT0_iiS5_iiPiPS4_lS6_lS6_S7_S7_S7_S7_S6_S4_S4_.private_seg_size, 0
	.set _ZN9rocsolver6v33100L22stebz_splitting_kernelIdPdEEv15rocblas_erange_iT_S4_iiT0_iiS5_iiPiPS4_lS6_lS6_S7_S7_S7_S7_S6_S4_S4_.uses_vcc, 1
	.set _ZN9rocsolver6v33100L22stebz_splitting_kernelIdPdEEv15rocblas_erange_iT_S4_iiT0_iiS5_iiPiPS4_lS6_lS6_S7_S7_S7_S7_S6_S4_S4_.uses_flat_scratch, 0
	.set _ZN9rocsolver6v33100L22stebz_splitting_kernelIdPdEEv15rocblas_erange_iT_S4_iiT0_iiS5_iiPiPS4_lS6_lS6_S7_S7_S7_S7_S6_S4_S4_.has_dyn_sized_stack, 0
	.set _ZN9rocsolver6v33100L22stebz_splitting_kernelIdPdEEv15rocblas_erange_iT_S4_iiT0_iiS5_iiPiPS4_lS6_lS6_S7_S7_S7_S7_S6_S4_S4_.has_recursion, 0
	.set _ZN9rocsolver6v33100L22stebz_splitting_kernelIdPdEEv15rocblas_erange_iT_S4_iiT0_iiS5_iiPiPS4_lS6_lS6_S7_S7_S7_S7_S6_S4_S4_.has_indirect_call, 0
	.section	.AMDGPU.csdata,"",@progbits
; Kernel info:
; codeLenInByte = 5800
; TotalNumSgprs: 62
; NumVgprs: 30
; ScratchSize: 0
; MemoryBound: 0
; FloatMode: 240
; IeeeMode: 1
; LDSByteSize: 3072 bytes/workgroup (compile time only)
; SGPRBlocks: 7
; VGPRBlocks: 7
; NumSGPRsForWavesPerEU: 62
; NumVGPRsForWavesPerEU: 30
; Occupancy: 8
; WaveLimiterHint : 0
; COMPUTE_PGM_RSRC2:SCRATCH_EN: 0
; COMPUTE_PGM_RSRC2:USER_SGPR: 6
; COMPUTE_PGM_RSRC2:TRAP_HANDLER: 0
; COMPUTE_PGM_RSRC2:TGID_X_EN: 1
; COMPUTE_PGM_RSRC2:TGID_Y_EN: 1
; COMPUTE_PGM_RSRC2:TGID_Z_EN: 0
; COMPUTE_PGM_RSRC2:TIDIG_COMP_CNT: 0
	.section	.text._ZN9rocsolver6v33100L22stebz_bisection_kernelIdPdEEv15rocblas_erange_iT_T0_iiS5_iiPiPS4_lS6_lS6_lS6_S6_S7_S7_S7_S7_S6_S4_S4_,"axG",@progbits,_ZN9rocsolver6v33100L22stebz_bisection_kernelIdPdEEv15rocblas_erange_iT_T0_iiS5_iiPiPS4_lS6_lS6_lS6_S6_S7_S7_S7_S7_S6_S4_S4_,comdat
	.globl	_ZN9rocsolver6v33100L22stebz_bisection_kernelIdPdEEv15rocblas_erange_iT_T0_iiS5_iiPiPS4_lS6_lS6_lS6_S6_S7_S7_S7_S7_S6_S4_S4_ ; -- Begin function _ZN9rocsolver6v33100L22stebz_bisection_kernelIdPdEEv15rocblas_erange_iT_T0_iiS5_iiPiPS4_lS6_lS6_lS6_S6_S7_S7_S7_S7_S6_S4_S4_
	.p2align	8
	.type	_ZN9rocsolver6v33100L22stebz_bisection_kernelIdPdEEv15rocblas_erange_iT_T0_iiS5_iiPiPS4_lS6_lS6_lS6_S6_S7_S7_S7_S7_S6_S4_S4_,@function
_ZN9rocsolver6v33100L22stebz_bisection_kernelIdPdEEv15rocblas_erange_iT_T0_iiS5_iiPiPS4_lS6_lS6_lS6_S6_S7_S7_S7_S7_S6_S4_S4_: ; @_ZN9rocsolver6v33100L22stebz_bisection_kernelIdPdEEv15rocblas_erange_iT_T0_iiS5_iiPiPS4_lS6_lS6_lS6_S6_S7_S7_S7_S7_S6_S4_S4_
; %bb.0:
	s_load_dwordx16 s[8:23], s[4:5], 0x30
	s_mov_b32 s52, s7
	s_ashr_i32 s53, s7, 31
	s_lshl_b64 s[0:1], s[52:53], 2
	s_waitcnt lgkmcnt(0)
	s_add_u32 s2, s8, s0
	s_addc_u32 s3, s9, s1
	s_load_dword s33, s[2:3], 0x0
	s_waitcnt lgkmcnt(0)
	s_cmp_ge_i32 s6, s33
	s_cbranch_scc1 .LBB7_85
; %bb.1:
	s_load_dwordx8 s[24:31], s[4:5], 0x8
	s_load_dwordx2 s[34:35], s[4:5], 0x0
	s_load_dwordx2 s[2:3], s[4:5], 0x28
	s_load_dwordx8 s[36:43], s[4:5], 0x70
	s_mov_b32 s46, 0x55555780
	s_waitcnt lgkmcnt(0)
	s_mul_hi_i32 s45, s29, s52
	s_mul_i32 s44, s29, s52
	s_ashr_i32 s9, s28, 31
	s_lshl_b64 s[54:55], s[44:45], 3
	s_mov_b32 s8, s28
	s_add_u32 s7, s26, s54
	s_addc_u32 s28, s27, s55
	s_lshl_b64 s[56:57], s[8:9], 3
	s_add_u32 s64, s7, s56
	s_addc_u32 s65, s28, s57
	s_mul_hi_i32 s29, s3, s52
	s_mul_i32 s28, s3, s52
	s_ashr_i32 s9, s2, 31
	s_lshl_b64 s[58:59], s[28:29], 3
	s_mov_b32 s8, s2
	s_add_u32 s2, s30, s58
	s_addc_u32 s3, s31, s59
	s_lshl_b64 s[60:61], s[8:9], 3
	s_add_u32 s66, s2, s60
	s_addc_u32 s67, s3, s61
	s_mul_i32 s2, s12, s53
	s_mul_hi_u32 s3, s12, s52
	s_add_i32 s2, s3, s2
	s_mul_i32 s3, s13, s52
	s_add_i32 s3, s2, s3
	s_mul_i32 s2, s12, s52
	s_lshl_b64 s[2:3], s[2:3], 3
	s_add_u32 s68, s10, s2
	s_addc_u32 s69, s11, s3
	s_mul_i32 s2, s16, s53
	s_mul_hi_u32 s3, s16, s52
	s_add_i32 s2, s3, s2
	s_mul_i32 s3, s17, s52
	s_add_i32 s3, s2, s3
	s_mul_i32 s2, s16, s52
	;; [unrolled: 9-line block ×3, first 2 shown]
	s_lshl_b64 s[2:3], s[2:3], 2
	s_add_u32 s72, s18, s2
	s_addc_u32 s73, s19, s3
	s_add_i32 s2, s35, -1
	s_mul_i32 s2, s2, s52
	s_ashr_i32 s3, s2, 31
	s_lshl_b64 s[2:3], s[2:3], 3
	s_add_u32 s74, s40, s2
	s_addc_u32 s75, s41, s3
	s_lshl_b32 s2, s52, 1
	s_ashr_i32 s3, s2, 31
	s_lshl_b64 s[2:3], s[2:3], 3
	s_add_u32 s16, s42, s2
	s_addc_u32 s17, s43, s3
	s_lshl_b64 s[2:3], s[52:53], 3
	s_add_u32 s2, s38, s2
	s_addc_u32 s3, s39, s3
	s_load_dwordx2 s[18:19], s[2:3], 0x0
	s_mov_b32 s20, 0x55555555
	s_mov_b32 s21, 0x3fe55555
	;; [unrolled: 1-line block ×4, first 2 shown]
	s_waitcnt lgkmcnt(0)
	v_frexp_mant_f64_e32 v[1:2], s[18:19]
	s_mov_b32 s40, 0x16291751
	s_mov_b32 s41, 0x3fcc71c0
	;; [unrolled: 1-line block ×7, first 2 shown]
	v_cmp_gt_f64_e32 vcc, s[20:21], v[1:2]
	s_mov_b32 s48, 0xfefa39ef
	s_mov_b32 s49, 0x3fe62e42
	;; [unrolled: 1-line block ×4, first 2 shown]
	s_load_dwordx8 s[8:15], s[4:5], 0x90
	s_waitcnt lgkmcnt(0)
	s_add_u32 s14, s22, s0
	s_mul_i32 s22, s35, s52
	v_cndmask_b32_e64 v3, 0, 1, vcc
	v_ldexp_f64 v[1:2], v[1:2], v3
	s_addc_u32 s15, s23, s1
	s_lshl_b32 s28, s22, 2
	s_ashr_i32 s29, s28, 31
	s_lshl_b64 s[52:53], s[28:29], 3
	s_add_u32 s77, s8, s52
	s_addc_u32 s78, s9, s53
	s_lshl_b64 s[8:9], s[28:29], 2
	v_add_f64 v[3:4], v[1:2], 1.0
	v_add_f64 v[9:10], v[1:2], -1.0
	v_mov_b32_e32 v21, 0x7ff80000
	s_add_u32 s79, s10, s8
	s_addc_u32 s80, s11, s9
	s_ashr_i32 s23, s22, 31
	s_lshl_b64 s[8:9], s[22:23], 2
	s_add_u32 s81, s36, s8
	v_rcp_f64_e32 v[5:6], v[3:4]
	v_add_f64 v[11:12], v[3:4], -1.0
	s_addc_u32 s82, s37, s9
	s_cmpk_lg_i32 s34, 0xe7
	s_cselect_b64 s[22:23], -1, 0
	s_add_u32 s7, s54, s56
	s_addc_u32 s8, s55, s57
	s_add_u32 s7, s26, s7
	s_addc_u32 s8, s27, s8
	v_add_f64 v[1:2], v[1:2], -v[11:12]
	v_cmp_lt_f64_e64 s[4:5], s[24:25], 0
	s_add_u32 s34, s7, 8
	s_addc_u32 s83, s8, 0
	s_add_u32 s7, s58, s60
	s_addc_u32 s8, s59, s61
	s_add_u32 s7, s30, s7
	v_fma_f64 v[7:8], -v[3:4], v[5:6], 1.0
	s_addc_u32 s8, s31, s8
	v_mov_b32_e32 v22, 0xfff00000
	s_add_u32 s84, s7, 8
	v_cmp_eq_u32_e64 s[0:1], 0, v0
	v_lshlrev_b32_e32 v23, 5, v0
	v_mov_b32_e32 v24, 0
	s_addc_u32 s85, s8, 0
	v_fma_f64 v[5:6], v[7:8], v[5:6], v[5:6]
	v_mov_b32_e32 v27, 1
                                        ; implicit-def: $sgpr86
                                        ; implicit-def: $sgpr87
                                        ; implicit-def: $sgpr88
                                        ; implicit-def: $sgpr89
                                        ; implicit-def: $vgpr28
	v_fma_f64 v[7:8], -v[3:4], v[5:6], 1.0
	v_fma_f64 v[5:6], v[7:8], v[5:6], v[5:6]
	v_mul_f64 v[7:8], v[9:10], v[5:6]
	v_mul_f64 v[13:14], v[3:4], v[7:8]
	v_fma_f64 v[3:4], v[7:8], v[3:4], -v[13:14]
	v_fma_f64 v[1:2], v[7:8], v[1:2], v[3:4]
	v_add_f64 v[3:4], v[13:14], v[1:2]
	v_add_f64 v[11:12], v[9:10], -v[3:4]
	v_add_f64 v[13:14], v[3:4], -v[13:14]
	;; [unrolled: 1-line block ×4, first 2 shown]
	v_mov_b32_e32 v13, 0x6b47b09a
	v_mov_b32_e32 v14, 0x3fc38538
	v_add_f64 v[3:4], v[9:10], -v[3:4]
	v_add_f64 v[1:2], v[1:2], v[3:4]
	v_add_f64 v[1:2], v[11:12], v[1:2]
	v_mul_f64 v[1:2], v[5:6], v[1:2]
	v_add_f64 v[3:4], v[7:8], v[1:2]
	v_mul_f64 v[5:6], v[3:4], v[3:4]
	v_fma_f64 v[9:10], v[5:6], s[2:3], v[13:14]
	s_mov_b32 s2, 0xd7f4df2e
	s_mov_b32 s3, 0x3fc7474d
	v_mul_f64 v[11:12], v[3:4], v[5:6]
	v_fma_f64 v[9:10], v[5:6], v[9:10], s[2:3]
	v_cmp_ne_u32_e64 s[2:3], 0, v0
	v_fma_f64 v[9:10], v[5:6], v[9:10], s[40:41]
	v_fma_f64 v[9:10], v[5:6], v[9:10], s[42:43]
	;; [unrolled: 1-line block ×4, first 2 shown]
	v_ldexp_f64 v[9:10], v[3:4], 1
	v_add_f64 v[3:4], v[3:4], -v[7:8]
	v_mul_f64 v[5:6], v[11:12], v[5:6]
	v_frexp_exp_i32_f64_e32 v11, s[18:19]
	v_add_f64 v[1:2], v[1:2], -v[3:4]
	v_add_f64 v[7:8], v[9:10], v[5:6]
	v_subbrev_co_u32_e32 v11, vcc, 0, v11, vcc
	v_cvt_f64_i32_e32 v[11:12], v11
	v_ldexp_f64 v[1:2], v[1:2], 1
	v_mul_f64 v[15:16], v[11:12], s[48:49]
	v_add_f64 v[3:4], v[7:8], -v[9:10]
	v_fma_f64 v[9:10], v[11:12], s[48:49], -v[15:16]
	v_add_f64 v[3:4], v[5:6], -v[3:4]
	v_fma_f64 v[5:6], v[11:12], s[50:51], v[9:10]
	v_add_f64 v[1:2], v[1:2], v[3:4]
	v_add_f64 v[3:4], v[15:16], v[5:6]
	;; [unrolled: 1-line block ×3, first 2 shown]
	v_add_f64 v[15:16], v[3:4], -v[15:16]
	v_add_f64 v[11:12], v[3:4], v[9:10]
	v_add_f64 v[7:8], v[9:10], -v[7:8]
	v_add_f64 v[5:6], v[5:6], -v[15:16]
	;; [unrolled: 1-line block ×4, first 2 shown]
	v_mov_b32_e32 v15, 0x1800
	v_mov_b32_e32 v16, 0x1000
	v_lshl_or_b32 v25, v0, 2, v15
	v_lshl_or_b32 v26, v0, 4, v16
	v_add_f64 v[15:16], s[12:13], s[12:13]
	v_add_f64 v[19:20], v[11:12], -v[17:18]
	v_add_f64 v[7:8], v[9:10], -v[17:18]
	v_add_f64 v[9:10], v[5:6], v[1:2]
	v_add_f64 v[3:4], v[3:4], -v[19:20]
	v_mov_b32_e32 v19, 0x204
	v_cmp_class_f64_e32 vcc, s[18:19], v19
	v_add_f64 v[3:4], v[7:8], v[3:4]
	v_add_f64 v[7:8], v[9:10], -v[5:6]
	v_add_f64 v[3:4], v[9:10], v[3:4]
	v_add_f64 v[9:10], v[9:10], -v[7:8]
	v_add_f64 v[1:2], v[1:2], -v[7:8]
	v_add_f64 v[17:18], v[11:12], v[3:4]
	v_add_f64 v[5:6], v[5:6], -v[9:10]
	v_mov_b32_e32 v9, s18
	v_mov_b32_e32 v10, s19
	v_add_f64 v[7:8], v[17:18], -v[11:12]
	v_add_f64 v[1:2], v[1:2], v[5:6]
	v_add_f64 v[3:4], v[3:4], -v[7:8]
	v_add_f64 v[1:2], v[1:2], v[3:4]
	v_add_f64 v[1:2], v[17:18], v[1:2]
	v_cndmask_b32_e32 v1, v1, v9, vcc
	v_cndmask_b32_e32 v2, v2, v10, vcc
	v_cmp_nlt_f64_e64 vcc, s[18:19], 0
	v_cndmask_b32_e32 v2, v21, v2, vcc
	v_cmp_nle_f64_e64 vcc, s[18:19], 0
	v_cndmask_b32_e32 v17, 0, v1, vcc
	v_cmp_neq_f64_e64 vcc, s[18:19], 0
	v_cndmask_b32_e32 v18, v22, v2, vcc
	s_branch .LBB7_4
.LBB7_2:                                ;   in Loop: Header=BB7_4 Depth=1
	s_or_b64 exec, exec, s[8:9]
	v_mov_b32_e32 v4, v28
	s_mov_b32 s47, s89
	s_mov_b32 s7, s88
	;; [unrolled: 1-line block ×4, first 2 shown]
.LBB7_3:                                ;   in Loop: Header=BB7_4 Depth=1
	s_add_i32 s6, s6, 64
	s_cmp_lt_i32 s6, s33
	s_mov_b32 s86, s27
	s_mov_b32 s87, s90
	s_mov_b32 s88, s7
	s_mov_b32 s89, s47
	v_mov_b32_e32 v28, v4
	s_waitcnt vmcnt(0)
	s_barrier
	s_cbranch_scc0 .LBB7_85
.LBB7_4:                                ; =>This Loop Header: Depth=1
                                        ;     Child Loop BB7_9 Depth 2
                                        ;     Child Loop BB7_20 Depth 2
	;; [unrolled: 1-line block ×4, first 2 shown]
                                        ;       Child Loop BB7_37 Depth 3
                                        ;         Child Loop BB7_40 Depth 4
                                        ;         Child Loop BB7_53 Depth 4
                                        ;     Child Loop BB7_69 Depth 2
                                        ;       Child Loop BB7_71 Depth 3
	s_ashr_i32 s7, s6, 31
	s_cmp_eq_u32 s6, 0
	s_mov_b32 s26, 0
	s_cbranch_scc1 .LBB7_6
; %bb.5:                                ;   in Loop: Header=BB7_4 Depth=1
	s_lshl_b64 s[8:9], s[6:7], 2
	s_add_u32 s8, s72, s8
	s_addc_u32 s9, s73, s9
	global_load_dword v1, v24, s[8:9] offset:-4
	s_waitcnt vmcnt(0)
	v_readfirstlane_b32 s26, v1
.LBB7_6:                                ;   in Loop: Header=BB7_4 Depth=1
	s_lshl_b64 s[30:31], s[6:7], 2
	s_add_u32 s8, s72, s30
	s_addc_u32 s9, s73, s31
	global_load_dword v1, v24, s[8:9]
	s_waitcnt vmcnt(0)
	v_readfirstlane_b32 s90, v1
	s_sub_i32 s10, s90, s26
	s_cmp_lg_u32 s10, 1
	s_cbranch_scc0 .LBB7_63
; %bb.7:                                ;   in Loop: Header=BB7_4 Depth=1
	s_ashr_i32 s27, s26, 31
	s_lshl_b64 s[52:53], s[26:27], 3
	s_add_u32 s36, s64, s52
	s_addc_u32 s37, s65, s53
	s_add_u32 s8, s66, s52
	s_addc_u32 s9, s67, s53
	global_load_dwordx2 v[9:10], v24, s[36:37]
	global_load_dwordx2 v[5:6], v24, s[8:9]
	s_cmp_lt_i32 s10, 3
	s_waitcnt vmcnt(0)
	v_add_f64 v[1:2], v[9:10], -|v[5:6]|
	v_add_f64 v[3:4], v[9:10], |v[5:6]|
	v_and_b32_e32 v6, 0x7fffffff, v6
	s_cbranch_scc1 .LBB7_10
; %bb.8:                                ;   in Loop: Header=BB7_4 Depth=1
	s_add_i32 s7, s10, -2
	s_add_u32 s54, s34, s52
	s_addc_u32 s55, s83, s53
	s_add_u32 s56, s84, s52
	s_addc_u32 s57, s85, s53
.LBB7_9:                                ;   Parent Loop BB7_4 Depth=1
                                        ; =>  This Inner Loop Header: Depth=2
	global_load_dwordx2 v[7:8], v24, s[54:55]
	global_load_dwordx2 v[11:12], v24, s[56:57]
	s_add_i32 s7, s7, -1
	s_add_u32 s54, s54, 8
	s_addc_u32 s55, s55, 0
	s_add_u32 s56, s56, 8
	s_addc_u32 s57, s57, 0
	s_cmp_lg_u32 s7, 0
	s_waitcnt vmcnt(1)
	v_add_f64 v[19:20], v[7:8], -v[5:6]
	v_add_f64 v[5:6], v[5:6], v[7:8]
	s_waitcnt vmcnt(0)
	v_add_f64 v[7:8], v[19:20], -|v[11:12]|
	v_add_f64 v[19:20], v[5:6], |v[11:12]|
	v_and_b32_e32 v6, 0x7fffffff, v12
	v_mov_b32_e32 v5, v11
	v_cmp_lt_f64_e32 vcc, v[7:8], v[1:2]
	v_cmp_lt_f64_e64 s[8:9], v[3:4], v[19:20]
	v_cndmask_b32_e32 v2, v2, v8, vcc
	v_cndmask_b32_e64 v4, v4, v20, s[8:9]
	v_cndmask_b32_e32 v1, v1, v7, vcc
	v_cndmask_b32_e64 v3, v3, v19, s[8:9]
	s_cbranch_scc1 .LBB7_9
.LBB7_10:                               ;   in Loop: Header=BB7_4 Depth=1
	s_ashr_i32 s11, s10, 31
	s_lshl_b64 s[8:9], s[10:11], 3
	s_add_u32 s8, s36, s8
	s_addc_u32 s9, s37, s9
	global_load_dwordx2 v[7:8], v24, s[8:9] offset:-8
	s_waitcnt vmcnt(0)
	v_add_f64 v[11:12], v[7:8], -v[5:6]
	v_add_f64 v[5:6], v[5:6], v[7:8]
	v_cmp_lt_f64_e32 vcc, v[11:12], v[1:2]
	v_cmp_lt_f64_e64 s[8:9], v[3:4], v[5:6]
	v_cndmask_b32_e32 v7, v2, v12, vcc
	v_cndmask_b32_e64 v4, v4, v6, s[8:9]
	v_cndmask_b32_e32 v6, v1, v11, vcc
	v_cndmask_b32_e64 v3, v3, v5, s[8:9]
	v_cmp_lt_f64_e64 vcc, |v[6:7]|, |v[3:4]|
	v_cvt_f64_i32_e32 v[11:12], s10
	v_cndmask_b32_e32 v2, v7, v4, vcc
	v_cndmask_b32_e32 v1, v6, v3, vcc
	v_mul_f64 v[1:2], s[12:13], |v[1:2]|
	s_andn2_b64 vcc, exec, s[22:23]
	v_fma_f64 v[5:6], -v[1:2], v[11:12], v[6:7]
	v_fma_f64 v[3:4], v[1:2], v[11:12], v[3:4]
	v_add_f64 v[5:6], v[5:6], -s[18:19]
	v_add_f64 v[7:8], s[18:19], v[3:4]
	s_cbranch_vccnz .LBB7_12
; %bb.11:                               ;   in Loop: Header=BB7_4 Depth=1
	global_load_dwordx4 v[29:32], v24, s[16:17]
	s_waitcnt vmcnt(0)
	v_cmp_lt_f64_e32 vcc, v[5:6], v[29:30]
	v_cmp_lt_f64_e64 s[8:9], v[31:32], v[7:8]
	v_cndmask_b32_e32 v6, v6, v30, vcc
	v_cndmask_b32_e64 v8, v8, v32, s[8:9]
	v_cndmask_b32_e32 v5, v5, v29, vcc
	v_cndmask_b32_e64 v7, v7, v31, s[8:9]
.LBB7_12:                               ;   in Loop: Header=BB7_4 Depth=1
	v_cmp_nlt_f64_e32 vcc, v[5:6], v[7:8]
	s_mov_b64 s[8:9], -1
	s_cbranch_vccz .LBB7_16
; %bb.13:                               ;   in Loop: Header=BB7_4 Depth=1
	s_and_saveexec_b64 s[8:9], s[0:1]
	s_cbranch_execz .LBB7_15
; %bb.14:                               ;   in Loop: Header=BB7_4 Depth=1
	s_add_u32 s28, s81, s30
	s_addc_u32 s29, s82, s31
	ds_write_b16 v24, v24 offset:6660
	global_store_dword v24, v24, s[28:29]
.LBB7_15:                               ;   in Loop: Header=BB7_4 Depth=1
	s_or_b64 exec, exec, s[8:9]
	s_mov_b64 s[8:9], 0
.LBB7_16:                               ;   in Loop: Header=BB7_4 Depth=1
	s_andn2_b64 vcc, exec, s[8:9]
	v_mov_b32_e32 v4, v28
	s_mov_b32 s47, s89
	s_mov_b32 s7, s88
	;; [unrolled: 1-line block ×3, first 2 shown]
	s_cbranch_vccnz .LBB7_29
; %bb.17:                               ;   in Loop: Header=BB7_4 Depth=1
	v_add_f64 v[3:4], v[7:8], -v[5:6]
	s_mov_b32 s8, 0xbf559e2b
	s_mov_b32 s9, 0x3fc3ab76
	s_mov_b32 s47, s21
	s_movk_i32 s7, 0x204
	v_add_f64 v[3:4], s[18:19], v[3:4]
	v_frexp_mant_f64_e32 v[11:12], v[3:4]
	v_cmp_gt_f64_e32 vcc, s[20:21], v[11:12]
	v_cndmask_b32_e64 v19, 0, 1, vcc
	v_ldexp_f64 v[11:12], v[11:12], v19
	v_add_f64 v[19:20], v[11:12], 1.0
	v_add_f64 v[33:34], v[11:12], -1.0
	v_rcp_f64_e32 v[29:30], v[19:20]
	v_add_f64 v[35:36], v[19:20], -1.0
	v_add_f64 v[11:12], v[11:12], -v[35:36]
	v_fma_f64 v[31:32], -v[19:20], v[29:30], 1.0
	v_fma_f64 v[29:30], v[31:32], v[29:30], v[29:30]
	v_fma_f64 v[31:32], -v[19:20], v[29:30], 1.0
	v_fma_f64 v[29:30], v[31:32], v[29:30], v[29:30]
	v_mul_f64 v[31:32], v[33:34], v[29:30]
	v_mul_f64 v[37:38], v[19:20], v[31:32]
	v_fma_f64 v[19:20], v[31:32], v[19:20], -v[37:38]
	v_fma_f64 v[11:12], v[31:32], v[11:12], v[19:20]
	v_add_f64 v[19:20], v[37:38], v[11:12]
	v_add_f64 v[35:36], v[33:34], -v[19:20]
	v_add_f64 v[37:38], v[19:20], -v[37:38]
	;; [unrolled: 1-line block ×5, first 2 shown]
	v_add_f64 v[11:12], v[11:12], v[19:20]
	v_add_f64 v[11:12], v[35:36], v[11:12]
	v_mul_f64 v[11:12], v[29:30], v[11:12]
	v_add_f64 v[19:20], v[31:32], v[11:12]
	v_mul_f64 v[29:30], v[19:20], v[19:20]
	v_fma_f64 v[33:34], v[29:30], s[8:9], v[13:14]
	s_mov_b32 s8, 0xd7f4df2e
	s_mov_b32 s9, 0x3fc7474d
	v_mul_f64 v[35:36], v[19:20], v[29:30]
	v_fma_f64 v[33:34], v[29:30], v[33:34], s[8:9]
	v_fma_f64 v[33:34], v[29:30], v[33:34], s[40:41]
	;; [unrolled: 1-line block ×5, first 2 shown]
	v_ldexp_f64 v[33:34], v[19:20], 1
	v_add_f64 v[19:20], v[19:20], -v[31:32]
	v_mul_f64 v[29:30], v[35:36], v[29:30]
	v_frexp_exp_i32_f64_e32 v35, v[3:4]
	v_add_f64 v[11:12], v[11:12], -v[19:20]
	v_add_f64 v[31:32], v[33:34], v[29:30]
	v_subbrev_co_u32_e32 v35, vcc, 0, v35, vcc
	v_cvt_f64_i32_e32 v[35:36], v35
	v_ldexp_f64 v[11:12], v[11:12], 1
	v_cmp_class_f64_e64 vcc, v[3:4], s7
	v_mul_f64 v[37:38], v[35:36], s[48:49]
	v_add_f64 v[19:20], v[31:32], -v[33:34]
	v_fma_f64 v[33:34], v[35:36], s[48:49], -v[37:38]
	v_add_f64 v[19:20], v[29:30], -v[19:20]
	v_fma_f64 v[29:30], v[35:36], s[50:51], v[33:34]
	v_add_f64 v[11:12], v[11:12], v[19:20]
	v_add_f64 v[19:20], v[37:38], v[29:30]
	;; [unrolled: 1-line block ×3, first 2 shown]
	v_add_f64 v[37:38], v[19:20], -v[37:38]
	v_add_f64 v[35:36], v[19:20], v[33:34]
	v_add_f64 v[31:32], v[33:34], -v[31:32]
	v_add_f64 v[29:30], v[29:30], -v[37:38]
	v_add_f64 v[39:40], v[35:36], -v[19:20]
	v_add_f64 v[11:12], v[11:12], -v[31:32]
	v_add_f64 v[41:42], v[35:36], -v[39:40]
	v_add_f64 v[31:32], v[33:34], -v[39:40]
	v_add_f64 v[33:34], v[29:30], v[11:12]
	v_add_f64 v[19:20], v[19:20], -v[41:42]
	v_add_f64 v[19:20], v[31:32], v[19:20]
	v_add_f64 v[31:32], v[33:34], -v[29:30]
	;; [unrolled: 2-line block ×3, first 2 shown]
	v_add_f64 v[11:12], v[11:12], -v[31:32]
	v_add_f64 v[37:38], v[35:36], v[19:20]
	v_add_f64 v[29:30], v[29:30], -v[33:34]
	v_add_f64 v[31:32], v[37:38], -v[35:36]
	v_add_f64 v[11:12], v[11:12], v[29:30]
	v_add_f64 v[19:20], v[19:20], -v[31:32]
	v_add_f64 v[11:12], v[11:12], v[19:20]
	v_add_f64 v[11:12], v[37:38], v[11:12]
	v_cndmask_b32_e32 v11, v11, v3, vcc
	v_cndmask_b32_e32 v12, v12, v4, vcc
	v_cmp_ngt_f64_e32 vcc, 0, v[3:4]
	v_cndmask_b32_e32 v12, v21, v12, vcc
	v_cmp_nge_f64_e32 vcc, 0, v[3:4]
	v_cndmask_b32_e32 v11, 0, v11, vcc
	v_cmp_neq_f64_e32 vcc, 0, v[3:4]
	v_cndmask_b32_e32 v12, v22, v12, vcc
	v_add_f64 v[3:4], v[11:12], -v[17:18]
	v_div_scale_f64 v[11:12], s[8:9], s[48:49], s[48:49], v[3:4]
	v_rcp_f64_e32 v[19:20], v[11:12]
	v_fma_f64 v[29:30], -v[11:12], v[19:20], 1.0
	v_fma_f64 v[19:20], v[19:20], v[29:30], v[19:20]
	v_div_scale_f64 v[29:30], vcc, v[3:4], s[48:49], v[3:4]
	v_fma_f64 v[31:32], -v[11:12], v[19:20], 1.0
	v_fma_f64 v[19:20], v[19:20], v[31:32], v[19:20]
	v_mul_f64 v[31:32], v[29:30], v[19:20]
	v_fma_f64 v[11:12], -v[11:12], v[31:32], v[29:30]
	v_div_fmas_f64 v[11:12], v[11:12], v[19:20], v[31:32]
	v_div_fixup_f64 v[3:4], v[11:12], s[48:49], v[3:4]
	v_cvt_i32_f64_e32 v3, v[3:4]
	v_mov_b32_e32 v4, v28
	v_readfirstlane_b32 s7, v3
	s_and_saveexec_b64 s[54:55], s[0:1]
	s_cbranch_execz .LBB7_28
; %bb.18:                               ;   in Loop: Header=BB7_4 Depth=1
	v_add_f64 v[11:12], v[9:10], -v[5:6]
	s_add_u32 s56, s74, s52
	s_addc_u32 s57, s75, s53
	s_cmp_gt_i32 s10, 1
	s_cselect_b64 s[58:59], -1, 0
	s_cmp_lt_i32 s10, 2
	ds_write_b8 v24, v24 offset:6661
	v_cmp_ge_f64_e32 vcc, s[18:19], v[11:12]
	v_cndmask_b32_e64 v3, 0, 1, vcc
	s_cbranch_scc1 .LBB7_21
; %bb.19:                               ;   in Loop: Header=BB7_4 Depth=1
	v_cmp_gt_f64_e64 s[8:9], v[11:12], -s[18:19]
	s_not_b32 s27, s26
	s_xor_b32 s11, s19, 0x80000000
	s_add_i32 s27, s27, s90
	v_mov_b32_e32 v4, s18
	v_mov_b32_e32 v19, s11
	s_mov_b64 s[62:63], s[56:57]
	s_and_b64 vcc, vcc, s[8:9]
	s_add_u32 s60, s34, s52
	v_cndmask_b32_e32 v12, v12, v19, vcc
	v_cndmask_b32_e32 v11, v11, v4, vcc
	s_addc_u32 s61, s83, s53
.LBB7_20:                               ;   Parent Loop BB7_4 Depth=1
                                        ; =>  This Inner Loop Header: Depth=2
	global_load_dwordx2 v[19:20], v24, s[62:63]
	global_load_dwordx2 v[29:30], v24, s[60:61]
	s_add_i32 s27, s27, -1
	v_mov_b32_e32 v4, s11
	s_waitcnt vmcnt(1)
	v_div_scale_f64 v[31:32], s[8:9], v[11:12], v[11:12], v[19:20]
	s_waitcnt vmcnt(0)
	v_add_f64 v[29:30], v[29:30], -v[5:6]
	v_rcp_f64_e32 v[33:34], v[31:32]
	v_fma_f64 v[35:36], -v[31:32], v[33:34], 1.0
	v_fma_f64 v[33:34], v[33:34], v[35:36], v[33:34]
	v_div_scale_f64 v[35:36], vcc, v[19:20], v[11:12], v[19:20]
	v_fma_f64 v[37:38], -v[31:32], v[33:34], 1.0
	v_fma_f64 v[33:34], v[33:34], v[37:38], v[33:34]
	v_mul_f64 v[37:38], v[35:36], v[33:34]
	v_fma_f64 v[31:32], -v[31:32], v[37:38], v[35:36]
	v_div_fmas_f64 v[31:32], v[31:32], v[33:34], v[37:38]
	v_div_fixup_f64 v[11:12], v[31:32], v[11:12], v[19:20]
	v_mov_b32_e32 v19, s18
	v_add_f64 v[11:12], v[29:30], -v[11:12]
	v_cmp_ge_f64_e32 vcc, s[18:19], v[11:12]
	v_cmp_gt_f64_e64 s[28:29], v[11:12], -s[18:19]
	v_addc_co_u32_e64 v3, s[8:9], 0, v3, vcc
	s_and_b64 vcc, vcc, s[28:29]
	s_add_u32 s60, s60, 8
	s_addc_u32 s61, s61, 0
	s_add_u32 s62, s62, 8
	s_addc_u32 s63, s63, 0
	v_cndmask_b32_e32 v12, v12, v4, vcc
	s_cmp_lg_u32 s27, 0
	v_cndmask_b32_e32 v11, v11, v19, vcc
	s_cbranch_scc1 .LBB7_20
.LBB7_21:                               ;   in Loop: Header=BB7_4 Depth=1
	v_add_f64 v[9:10], v[9:10], -v[7:8]
	s_andn2_b64 vcc, exec, s[58:59]
	v_cmp_ge_f64_e64 s[8:9], s[18:19], v[9:10]
	v_cndmask_b32_e64 v4, 0, 1, s[8:9]
	s_cbranch_vccnz .LBB7_24
; %bb.22:                               ;   in Loop: Header=BB7_4 Depth=1
	v_cmp_gt_f64_e64 s[28:29], v[9:10], -s[18:19]
	s_not_b32 s27, s26
	s_xor_b32 s11, s19, 0x80000000
	s_add_i32 s27, s27, s90
	v_mov_b32_e32 v11, s18
	v_mov_b32_e32 v12, s11
	s_and_b64 vcc, s[8:9], s[28:29]
	s_add_u32 s58, s34, s52
	v_cndmask_b32_e32 v10, v10, v12, vcc
	v_cndmask_b32_e32 v9, v9, v11, vcc
	s_addc_u32 s59, s83, s53
.LBB7_23:                               ;   Parent Loop BB7_4 Depth=1
                                        ; =>  This Inner Loop Header: Depth=2
	global_load_dwordx2 v[11:12], v24, s[56:57]
	global_load_dwordx2 v[19:20], v24, s[58:59]
	s_add_i32 s27, s27, -1
	s_waitcnt vmcnt(1)
	v_div_scale_f64 v[29:30], s[8:9], v[9:10], v[9:10], v[11:12]
	s_waitcnt vmcnt(0)
	v_add_f64 v[19:20], v[19:20], -v[7:8]
	v_rcp_f64_e32 v[31:32], v[29:30]
	v_fma_f64 v[33:34], -v[29:30], v[31:32], 1.0
	v_fma_f64 v[31:32], v[31:32], v[33:34], v[31:32]
	v_div_scale_f64 v[33:34], vcc, v[11:12], v[9:10], v[11:12]
	v_fma_f64 v[35:36], -v[29:30], v[31:32], 1.0
	v_fma_f64 v[31:32], v[31:32], v[35:36], v[31:32]
	v_mul_f64 v[35:36], v[33:34], v[31:32]
	v_fma_f64 v[29:30], -v[29:30], v[35:36], v[33:34]
	v_div_fmas_f64 v[29:30], v[29:30], v[31:32], v[35:36]
	v_div_fixup_f64 v[9:10], v[29:30], v[9:10], v[11:12]
	v_mov_b32_e32 v11, s11
	v_mov_b32_e32 v12, s18
	v_add_f64 v[9:10], v[19:20], -v[9:10]
	v_cmp_ge_f64_e32 vcc, s[18:19], v[9:10]
	v_cmp_gt_f64_e64 s[28:29], v[9:10], -s[18:19]
	v_addc_co_u32_e64 v4, s[8:9], 0, v4, vcc
	s_and_b64 vcc, vcc, s[28:29]
	s_add_u32 s58, s58, 8
	s_addc_u32 s59, s59, 0
	s_add_u32 s56, s56, 8
	s_addc_u32 s57, s57, 0
	v_cndmask_b32_e32 v10, v10, v11, vcc
	s_cmp_lg_u32 s27, 0
	v_cndmask_b32_e32 v9, v9, v12, vcc
	s_cbranch_scc1 .LBB7_23
.LBB7_24:                               ;   in Loop: Header=BB7_4 Depth=1
	v_sub_u32_e32 v9, v4, v3
	v_cmp_gt_i32_e32 vcc, 1, v9
	s_mov_b64 s[8:9], -1
	s_cbranch_vccz .LBB7_26
; %bb.25:                               ;   in Loop: Header=BB7_4 Depth=1
	s_add_u32 s8, s81, s30
	s_addc_u32 s9, s82, s31
	ds_write_b8 v24, v24 offset:6660
	global_store_dword v24, v24, s[8:9]
	s_mov_b64 s[8:9], 0
.LBB7_26:                               ;   in Loop: Header=BB7_4 Depth=1
	s_andn2_b64 vcc, exec, s[8:9]
	s_cbranch_vccnz .LBB7_28
; %bb.27:                               ;   in Loop: Header=BB7_4 Depth=1
	s_add_i32 s8, s26, s35
	s_lshl_b32 s8, s8, 1
	s_ashr_i32 s9, s8, 31
	s_lshl_b64 s[28:29], s[8:9], 3
	s_add_u32 s28, s77, s28
	s_addc_u32 s29, s78, s29
	global_store_dwordx4 v24, v[5:8], s[28:29]
	s_add_u32 s28, s81, s30
	s_addc_u32 s29, s82, s31
	s_lshl_b64 s[8:9], s[8:9], 2
	s_add_u32 s8, s79, s8
	s_addc_u32 s9, s80, s9
	ds_write_b8 v24, v27 offset:6660
	global_store_dword v24, v9, s[28:29]
	global_store_dwordx2 v24, v[3:4], s[8:9]
.LBB7_28:                               ;   in Loop: Header=BB7_4 Depth=1
	s_or_b64 exec, exec, s[54:55]
	s_add_i32 s7, s7, 2
	s_mov_b32 s27, 0
	s_mov_b32 s47, 1
.LBB7_29:                               ;   in Loop: Header=BB7_4 Depth=1
	s_waitcnt vmcnt(0) lgkmcnt(0)
	s_barrier
	ds_read_u16 v3, v24 offset:6660
	s_waitcnt lgkmcnt(0)
	v_readfirstlane_b32 s8, v3
	s_bitcmp1_b32 s8, 0
	s_cselect_b64 s[58:59], -1, 0
	s_bitcmp1_b32 s8, 8
	s_cselect_b64 s[8:9], -1, 0
	s_xor_b64 s[28:29], s[8:9], -1
	s_and_b64 s[28:29], s[58:59], s[28:29]
	s_cmp_lt_i32 s27, s7
	s_cselect_b64 s[54:55], -1, 0
	s_and_b64 s[28:29], s[28:29], s[54:55]
	s_andn2_b64 vcc, exec, s[28:29]
	s_cbranch_vccnz .LBB7_64
; %bb.30:                               ;   in Loop: Header=BB7_4 Depth=1
	v_mov_b32_e32 v3, s25
	v_cndmask_b32_e64 v2, v3, v2, s[4:5]
	v_mov_b32_e32 v3, s24
	v_cndmask_b32_e64 v1, v3, v1, s[4:5]
	v_cmp_gt_f64_e32 vcc, s[18:19], v[1:2]
	s_add_i32 s8, s26, s35
	s_lshl_b32 s91, s26, 1
	s_lshl_b32 s92, s8, 1
	s_add_u32 s54, s74, s52
	s_addc_u32 s55, s75, s53
	s_cmp_gt_i32 s10, 1
	s_cselect_b64 s[56:57], -1, 0
	s_not_b32 s28, s26
	s_add_i32 s28, s28, s90
	v_mov_b32_e32 v3, s19
	v_mov_b32_e32 v5, s18
	s_add_u32 s52, s34, s52
	v_cndmask_b32_e32 v20, v2, v3, vcc
	v_cndmask_b32_e32 v19, v1, v5, vcc
	s_addc_u32 s53, s83, s53
	s_branch .LBB7_32
.LBB7_31:                               ;   in Loop: Header=BB7_32 Depth=2
	s_or_b64 exec, exec, s[8:9]
	s_waitcnt lgkmcnt(0)
	s_barrier
	ds_read_u16 v1, v24 offset:6660
	s_add_i32 s27, s27, 1
	s_waitcnt lgkmcnt(0)
	v_readfirstlane_b32 s8, v1
	s_bitcmp1_b32 s8, 0
	s_cselect_b64 s[58:59], -1, 0
	s_bitcmp1_b32 s8, 8
	s_cselect_b64 s[8:9], -1, 0
	s_xor_b64 s[10:11], s[8:9], -1
	s_and_b64 s[10:11], s[58:59], s[10:11]
	s_cmp_lt_i32 s27, s7
	s_cselect_b64 s[38:39], -1, 0
	s_and_b64 s[10:11], s[10:11], s[38:39]
	s_and_b64 vcc, exec, s[10:11]
	s_cbranch_vccz .LBB7_65
.LBB7_32:                               ;   Parent Loop BB7_4 Depth=1
                                        ; =>  This Loop Header: Depth=2
                                        ;       Child Loop BB7_37 Depth 3
                                        ;         Child Loop BB7_40 Depth 4
                                        ;         Child Loop BB7_53 Depth 4
	s_and_saveexec_b64 s[8:9], s[0:1]
; %bb.33:                               ;   in Loop: Header=BB7_32 Depth=2
	ds_write_b32 v24, v24 offset:6656
; %bb.34:                               ;   in Loop: Header=BB7_32 Depth=2
	s_or_b64 exec, exec, s[8:9]
	s_bitcmp0_b32 s27, 0
	s_cselect_b64 s[8:9], -1, 0
	s_and_b64 s[10:11], s[8:9], exec
	s_cselect_b32 s90, s91, s92
	s_cmp_lt_i32 s47, 1
	s_cbranch_scc1 .LBB7_60
; %bb.35:                               ;   in Loop: Header=BB7_32 Depth=2
	s_and_b64 s[8:9], s[8:9], exec
	s_cselect_b32 s94, s92, s91
	s_mov_b32 s95, 0
	s_branch .LBB7_37
.LBB7_36:                               ;   in Loop: Header=BB7_37 Depth=3
	s_or_b64 exec, exec, s[8:9]
	s_addk_i32 s95, 0x80
	s_cmp_ge_i32 s95, s47
	s_waitcnt lgkmcnt(0)
	s_barrier
	s_cbranch_scc1 .LBB7_60
.LBB7_37:                               ;   Parent Loop BB7_4 Depth=1
                                        ;     Parent Loop BB7_32 Depth=2
                                        ; =>    This Loop Header: Depth=3
                                        ;         Child Loop BB7_40 Depth 4
                                        ;         Child Loop BB7_53 Depth 4
	v_add_u32_e32 v1, s95, v0
	v_cmp_gt_i32_e64 s[8:9], s47, v1
	s_and_saveexec_b64 s[58:59], s[8:9]
	s_cbranch_execz .LBB7_50
; %bb.38:                               ;   in Loop: Header=BB7_37 Depth=3
	v_lshl_add_u32 v1, v1, 1, s94
	v_ashrrev_i32_e32 v2, 31, v1
	v_lshlrev_b64 v[3:4], 3, v[1:2]
	v_mov_b32_e32 v5, s78
	v_add_co_u32_e32 v3, vcc, s77, v3
	v_addc_co_u32_e32 v4, vcc, v5, v4, vcc
	global_load_dwordx4 v[5:8], v[3:4], off
	global_load_dwordx2 v[9:10], v24, s[36:37]
	v_lshlrev_b64 v[1:2], 2, v[1:2]
	v_mov_b32_e32 v3, s80
	v_add_co_u32_e32 v1, vcc, s79, v1
	v_addc_co_u32_e32 v2, vcc, v3, v2, vcc
	global_load_dwordx2 v[3:4], v[1:2], off
	s_andn2_b64 vcc, exec, s[56:57]
	s_waitcnt vmcnt(2)
	v_add_f64 v[11:12], v[5:6], v[7:8]
	s_waitcnt vmcnt(1)
	v_fma_f64 v[1:2], v[11:12], -0.5, v[9:10]
	v_mul_f64 v[9:10], v[11:12], 0.5
	v_cmp_ge_f64_e64 s[10:11], s[18:19], v[1:2]
	v_cndmask_b32_e64 v11, 0, 1, s[10:11]
	s_cbranch_vccnz .LBB7_41
; %bb.39:                               ;   in Loop: Header=BB7_37 Depth=3
	v_cmp_gt_f64_e64 vcc, v[1:2], -s[18:19]
	s_xor_b32 s76, s19, 0x80000000
	v_mov_b32_e32 v12, s18
	v_mov_b32_e32 v29, s76
	s_mov_b64 s[60:61], s[54:55]
	s_mov_b64 s[62:63], s[52:53]
	s_mov_b32 s93, s28
	s_and_b64 vcc, s[10:11], vcc
	v_cndmask_b32_e32 v2, v2, v29, vcc
	v_cndmask_b32_e32 v1, v1, v12, vcc
.LBB7_40:                               ;   Parent Loop BB7_4 Depth=1
                                        ;     Parent Loop BB7_32 Depth=2
                                        ;       Parent Loop BB7_37 Depth=3
                                        ; =>      This Inner Loop Header: Depth=4
	global_load_dwordx2 v[29:30], v24, s[60:61]
	global_load_dwordx2 v[31:32], v24, s[62:63]
	s_add_i32 s93, s93, -1
	v_mov_b32_e32 v12, s76
	s_waitcnt vmcnt(1)
	v_div_scale_f64 v[33:34], s[10:11], v[1:2], v[1:2], v[29:30]
	s_waitcnt vmcnt(0)
	v_add_f64 v[31:32], v[31:32], -v[9:10]
	v_rcp_f64_e32 v[35:36], v[33:34]
	v_fma_f64 v[37:38], -v[33:34], v[35:36], 1.0
	v_fma_f64 v[35:36], v[35:36], v[37:38], v[35:36]
	v_div_scale_f64 v[37:38], vcc, v[29:30], v[1:2], v[29:30]
	v_fma_f64 v[39:40], -v[33:34], v[35:36], 1.0
	v_fma_f64 v[35:36], v[35:36], v[39:40], v[35:36]
	v_mul_f64 v[39:40], v[37:38], v[35:36]
	v_fma_f64 v[33:34], -v[33:34], v[39:40], v[37:38]
	v_div_fmas_f64 v[33:34], v[33:34], v[35:36], v[39:40]
	v_div_fixup_f64 v[1:2], v[33:34], v[1:2], v[29:30]
	v_mov_b32_e32 v29, s18
	v_add_f64 v[1:2], v[31:32], -v[1:2]
	v_cmp_ge_f64_e32 vcc, s[18:19], v[1:2]
	v_cmp_gt_f64_e64 s[38:39], v[1:2], -s[18:19]
	v_addc_co_u32_e64 v11, s[10:11], 0, v11, vcc
	s_and_b64 vcc, vcc, s[38:39]
	s_add_u32 s62, s62, 8
	s_addc_u32 s63, s63, 0
	s_add_u32 s60, s60, 8
	s_addc_u32 s61, s61, 0
	v_cndmask_b32_e32 v2, v2, v12, vcc
	s_cmp_lg_u32 s93, 0
	v_cndmask_b32_e32 v1, v1, v29, vcc
	s_cbranch_scc1 .LBB7_40
.LBB7_41:                               ;   in Loop: Header=BB7_37 Depth=3
	s_waitcnt vmcnt(0)
	v_max_i32_e32 v1, v11, v3
	v_min_i32_e32 v2, v1, v4
	v_cmp_ne_u32_e32 vcc, v2, v3
	s_and_saveexec_b64 s[10:11], vcc
	s_xor_b64 s[10:11], exec, s[10:11]
	s_cbranch_execz .LBB7_47
; %bb.42:                               ;   in Loop: Header=BB7_37 Depth=3
	v_cmp_le_i32_e32 vcc, v4, v1
	s_and_saveexec_b64 s[38:39], vcc
	s_xor_b64 s[60:61], exec, s[38:39]
	s_cbranch_execz .LBB7_44
; %bb.43:                               ;   in Loop: Header=BB7_37 Depth=3
	v_mov_b32_e32 v7, v9
	v_mov_b32_e32 v8, v10
	;; [unrolled: 1-line block ×3, first 2 shown]
	ds_write_b32 v25, v24
	ds_write_b128 v23, v[5:8]
	ds_write_b64 v26, v[1:2]
                                        ; implicit-def: $vgpr5_vgpr6
                                        ; implicit-def: $vgpr9_vgpr10
.LBB7_44:                               ;   in Loop: Header=BB7_37 Depth=3
	s_andn2_saveexec_b64 s[60:61], s[60:61]
	s_cbranch_execz .LBB7_46
; %bb.45:                               ;   in Loop: Header=BB7_37 Depth=3
	v_mov_b32_e32 v29, v5
	v_mov_b32_e32 v30, v6
	;; [unrolled: 1-line block ×8, first 2 shown]
	ds_write_b32 v25, v27
	ds_write_b128 v23, v[29:32]
	ds_write_b128 v23, v[9:12] offset:16
	ds_write_b128 v26, v[1:4]
.LBB7_46:                               ;   in Loop: Header=BB7_37 Depth=3
	s_or_b64 exec, exec, s[60:61]
                                        ; implicit-def: $vgpr9_vgpr10
                                        ; implicit-def: $vgpr7_vgpr8
.LBB7_47:                               ;   in Loop: Header=BB7_37 Depth=3
	s_andn2_saveexec_b64 s[10:11], s[10:11]
	s_cbranch_execz .LBB7_49
; %bb.48:                               ;   in Loop: Header=BB7_37 Depth=3
	v_mov_b32_e32 v11, v7
	v_mov_b32_e32 v12, v8
	ds_write_b32 v25, v24
	ds_write_b128 v23, v[9:12]
	ds_write_b64 v26, v[3:4]
.LBB7_49:                               ;   in Loop: Header=BB7_37 Depth=3
	s_or_b64 exec, exec, s[10:11]
.LBB7_50:                               ;   in Loop: Header=BB7_37 Depth=3
	s_or_b64 exec, exec, s[58:59]
	s_waitcnt lgkmcnt(0)
	s_barrier
	s_and_saveexec_b64 s[10:11], s[8:9]
	s_cbranch_execz .LBB7_58
; %bb.51:                               ;   in Loop: Header=BB7_37 Depth=3
	v_mov_b32_e32 v4, 0
	s_and_saveexec_b64 s[8:9], s[2:3]
	s_cbranch_execz .LBB7_55
; %bb.52:                               ;   in Loop: Header=BB7_37 Depth=3
	s_movk_i32 s29, 0x1800
	s_mov_b64 s[58:59], 0
	v_mov_b32_e32 v4, 0
	v_mov_b32_e32 v1, v0
.LBB7_53:                               ;   Parent Loop BB7_4 Depth=1
                                        ;     Parent Loop BB7_32 Depth=2
                                        ;       Parent Loop BB7_37 Depth=3
                                        ; =>      This Inner Loop Header: Depth=4
	v_mov_b32_e32 v2, s29
	ds_read_b32 v2, v2
	v_add_u32_e32 v1, -1, v1
	s_add_i32 s29, s29, 4
	v_cmp_eq_u32_e32 vcc, 0, v1
	s_or_b64 s[58:59], vcc, s[58:59]
	s_waitcnt lgkmcnt(0)
	v_add_u32_e32 v4, v2, v4
	s_andn2_b64 exec, exec, s[58:59]
	s_cbranch_execnz .LBB7_53
; %bb.54:                               ;   in Loop: Header=BB7_37 Depth=3
	s_or_b64 exec, exec, s[58:59]
.LBB7_55:                               ;   in Loop: Header=BB7_37 Depth=3
	s_or_b64 exec, exec, s[8:9]
	ds_read_b32 v1, v24 offset:6656
	ds_read_b64 v[11:12], v26
	ds_read_b128 v[7:10], v23
	ds_read_b32 v29, v25
	v_mov_b32_e32 v3, s78
	s_waitcnt lgkmcnt(3)
	v_add3_u32 v1, v4, v0, v1
	v_lshl_add_u32 v5, v1, 1, s90
	v_ashrrev_i32_e32 v6, 31, v5
	v_lshlrev_b64 v[1:2], 3, v[5:6]
	v_lshlrev_b64 v[5:6], 2, v[5:6]
	v_add_co_u32_e32 v1, vcc, s77, v1
	v_addc_co_u32_e32 v2, vcc, v3, v2, vcc
	v_mov_b32_e32 v3, s80
	v_add_co_u32_e32 v5, vcc, s79, v5
	v_addc_co_u32_e32 v6, vcc, v3, v6, vcc
	s_waitcnt lgkmcnt(0)
	v_cmp_ne_u32_e32 vcc, 0, v29
	global_store_dwordx4 v[1:2], v[7:10], off
	global_store_dwordx2 v[5:6], v[11:12], off
	s_and_saveexec_b64 s[8:9], vcc
	s_cbranch_execz .LBB7_57
; %bb.56:                               ;   in Loop: Header=BB7_37 Depth=3
	ds_read_b128 v[7:10], v23 offset:16
	ds_read_b64 v[11:12], v26 offset:8
	s_waitcnt lgkmcnt(1)
	global_store_dwordx4 v[1:2], v[7:10], off offset:16
	s_waitcnt lgkmcnt(0)
	global_store_dwordx2 v[5:6], v[11:12], off offset:8
.LBB7_57:                               ;   in Loop: Header=BB7_37 Depth=3
	s_or_b64 exec, exec, s[8:9]
.LBB7_58:                               ;   in Loop: Header=BB7_37 Depth=3
	s_or_b64 exec, exec, s[10:11]
	s_sub_i32 s8, s47, s95
	s_min_i32 s10, s8, 0x80
	s_add_i32 s8, s10, -1
	v_cmp_eq_u32_e32 vcc, s8, v0
	s_waitcnt vmcnt(0)
	s_barrier
	s_and_saveexec_b64 s[8:9], vcc
	s_cbranch_execz .LBB7_36
; %bb.59:                               ;   in Loop: Header=BB7_37 Depth=3
	ds_read_b32 v1, v25
	ds_read_b32 v2, v24 offset:6656
	v_add_u32_e32 v3, s10, v4
	s_waitcnt lgkmcnt(0)
	v_add3_u32 v1, v3, v1, v2
	ds_write_b32 v24, v1 offset:6656
	s_branch .LBB7_36
.LBB7_60:                               ;   in Loop: Header=BB7_32 Depth=2
	ds_read_b32 v1, v24 offset:6656
	s_waitcnt lgkmcnt(0)
	v_readfirstlane_b32 s47, v1
	s_and_saveexec_b64 s[8:9], s[0:1]
	s_cbranch_execz .LBB7_31
; %bb.61:                               ;   in Loop: Header=BB7_32 Depth=2
	ds_read_b128 v[5:8], v24
	s_waitcnt lgkmcnt(0)
	v_cmp_lt_f64_e64 vcc, |v[5:6]|, |v[7:8]|
	v_cndmask_b32_e32 v2, v6, v8, vcc
	v_cndmask_b32_e32 v1, v5, v7, vcc
	v_mul_f64 v[1:2], v[15:16], |v[1:2]|
	v_add_f64 v[5:6], v[7:8], -v[5:6]
	v_cmp_lt_f64_e32 vcc, v[19:20], v[1:2]
	v_cndmask_b32_e32 v2, v20, v2, vcc
	v_cndmask_b32_e32 v1, v19, v1, vcc
	v_cmp_nlt_f64_e32 vcc, v[5:6], v[1:2]
	s_cbranch_vccnz .LBB7_31
; %bb.62:                               ;   in Loop: Header=BB7_32 Depth=2
	ds_write_b8 v24, v27 offset:6661
	s_branch .LBB7_31
.LBB7_63:                               ;   in Loop: Header=BB7_4 Depth=1
                                        ; implicit-def: $sgpr27
                                        ; implicit-def: $sgpr90
                                        ; implicit-def: $sgpr7
                                        ; implicit-def: $sgpr47
                                        ; implicit-def: $vgpr4
	s_cbranch_execz .LBB7_3
	s_branch .LBB7_77
.LBB7_64:                               ;   in Loop: Header=BB7_4 Depth=1
	s_mov_b32 s90, s87
.LBB7_65:                               ;   in Loop: Header=BB7_4 Depth=1
	s_and_b64 s[28:29], s[0:1], s[58:59]
	s_and_saveexec_b64 s[10:11], s[28:29]
	s_cbranch_execz .LBB7_76
; %bb.66:                               ;   in Loop: Header=BB7_4 Depth=1
	s_cmp_lt_i32 s47, 1
	s_cbranch_scc1 .LBB7_74
; %bb.67:                               ;   in Loop: Header=BB7_4 Depth=1
	s_add_i32 s36, s6, 1
	s_not_b32 s37, s6
	s_and_b64 s[28:29], s[8:9], exec
	s_cselect_b32 s54, s36, s37
	s_mov_b32 s55, 0
	s_mov_b32 s56, 0
	s_branch .LBB7_69
.LBB7_68:                               ;   in Loop: Header=BB7_69 Depth=2
	s_add_i32 s55, s55, 1
	s_cmp_eq_u32 s55, s47
	s_cbranch_scc1 .LBB7_73
.LBB7_69:                               ;   Parent Loop BB7_4 Depth=1
                                        ; =>  This Loop Header: Depth=2
                                        ;       Child Loop BB7_71 Depth 3
	s_lshl_b32 s28, s55, 1
	s_add_i32 s36, s28, s90
	s_ashr_i32 s37, s36, 31
	s_lshl_b64 s[28:29], s[36:37], 2
	s_add_u32 s28, s79, s28
	s_addc_u32 s29, s80, s29
	global_load_dwordx2 v[1:2], v24, s[28:29]
	s_waitcnt vmcnt(0)
	v_readfirstlane_b32 s28, v1
	v_readfirstlane_b32 s57, v2
	s_sub_i32 s28, s57, s28
	s_cmp_lt_i32 s28, 1
	s_cbranch_scc1 .LBB7_68
; %bb.70:                               ;   in Loop: Header=BB7_69 Depth=2
	s_lshl_b64 s[36:37], s[36:37], 3
	s_add_u32 s36, s77, s36
	s_addc_u32 s37, s78, s37
	global_load_dwordx4 v[1:4], v24, s[36:37]
	s_add_i32 s38, s26, s56
	s_ashr_i32 s39, s38, 31
	s_lshl_b64 s[36:37], s[38:39], 3
	s_add_u32 s36, s68, s36
	s_addc_u32 s37, s69, s37
	s_lshl_b64 s[38:39], s[38:39], 2
	s_add_u32 s52, s70, s38
	s_addc_u32 s53, s71, s39
	s_mov_b32 s29, 0
	s_waitcnt vmcnt(0)
	v_add_f64 v[1:2], v[1:2], v[3:4]
	v_mul_f64 v[1:2], v[1:2], 0.5
.LBB7_71:                               ;   Parent Loop BB7_4 Depth=1
                                        ;     Parent Loop BB7_69 Depth=2
                                        ; =>    This Inner Loop Header: Depth=3
	s_add_i32 s29, s29, 1
	global_store_dwordx2 v24, v[1:2], s[36:37]
	s_add_u32 s36, s36, 8
	v_mov_b32_e32 v3, s54
	s_addc_u32 s37, s37, 0
	global_store_dword v24, v3, s[52:53]
	s_add_u32 s52, s52, 4
	s_addc_u32 s53, s53, 0
	s_cmp_ge_i32 s29, s28
	s_cbranch_scc0 .LBB7_71
; %bb.72:                               ;   in Loop: Header=BB7_69 Depth=2
	s_add_i32 s56, s56, s29
	s_branch .LBB7_68
.LBB7_73:                               ;   in Loop: Header=BB7_4 Depth=1
	v_mov_b32_e32 v4, s57
.LBB7_74:                               ;   in Loop: Header=BB7_4 Depth=1
	s_xor_b64 s[8:9], s[8:9], -1
	s_and_b64 vcc, exec, s[8:9]
	s_cbranch_vccz .LBB7_76
; %bb.75:                               ;   in Loop: Header=BB7_4 Depth=1
	global_store_dword v24, v27, s[14:15]
.LBB7_76:                               ;   in Loop: Header=BB7_4 Depth=1
	s_or_b64 exec, exec, s[10:11]
	s_branch .LBB7_3
.LBB7_77:                               ;   in Loop: Header=BB7_4 Depth=1
	s_and_saveexec_b64 s[8:9], s[0:1]
	s_cbranch_execz .LBB7_2
; %bb.78:                               ;   in Loop: Header=BB7_4 Depth=1
	s_ashr_i32 s27, s26, 31
	s_lshl_b64 s[10:11], s[26:27], 3
	s_add_u32 s28, s64, s10
	s_addc_u32 s29, s65, s11
	global_load_dwordx2 v[1:2], v24, s[28:29]
	s_andn2_b64 vcc, exec, s[22:23]
	s_mov_b64 s[36:37], -1
	s_cbranch_vccnz .LBB7_83
; %bb.79:                               ;   in Loop: Header=BB7_4 Depth=1
	global_load_dwordx2 v[5:6], v24, s[16:17]
	s_waitcnt vmcnt(1)
	v_add_f64 v[3:4], v[1:2], -s[18:19]
	s_mov_b64 s[36:37], 0
	s_waitcnt vmcnt(0)
	v_cmp_lt_f64_e32 vcc, v[5:6], v[3:4]
	v_cmp_nlt_f64_e64 s[52:53], v[5:6], v[3:4]
	s_cbranch_vccz .LBB7_81
; %bb.80:                               ;   in Loop: Header=BB7_4 Depth=1
	global_load_dwordx2 v[5:6], v24, s[16:17] offset:8
	s_mov_b64 s[36:37], -1
	s_waitcnt vmcnt(0)
	v_cmp_nge_f64_e64 s[52:53], v[5:6], v[3:4]
.LBB7_81:                               ;   in Loop: Header=BB7_4 Depth=1
	s_andn2_b64 vcc, exec, s[52:53]
	s_cbranch_vccnz .LBB7_83
; %bb.82:                               ;   in Loop: Header=BB7_4 Depth=1
	s_add_u32 s28, s81, s30
	s_addc_u32 s29, s82, s31
	global_store_dword v24, v24, s[28:29]
	s_mov_b64 s[36:37], 0
.LBB7_83:                               ;   in Loop: Header=BB7_4 Depth=1
	s_and_b64 vcc, exec, s[36:37]
	s_cbranch_vccz .LBB7_2
; %bb.84:                               ;   in Loop: Header=BB7_4 Depth=1
	s_add_u32 s10, s68, s10
	s_addc_u32 s11, s69, s11
	s_waitcnt vmcnt(0)
	global_store_dwordx2 v24, v[1:2], s[10:11]
	s_add_u32 s10, s81, s30
	s_addc_u32 s11, s82, s31
	global_store_dword v24, v27, s[10:11]
	s_add_i32 s7, s6, 1
	s_lshl_b64 s[10:11], s[26:27], 2
	s_add_u32 s10, s70, s10
	s_addc_u32 s11, s71, s11
	v_mov_b32_e32 v1, s7
	global_store_dword v24, v1, s[10:11]
	s_branch .LBB7_2
.LBB7_85:
	s_endpgm
	.section	.rodata,"a",@progbits
	.p2align	6, 0x0
	.amdhsa_kernel _ZN9rocsolver6v33100L22stebz_bisection_kernelIdPdEEv15rocblas_erange_iT_T0_iiS5_iiPiPS4_lS6_lS6_lS6_S6_S7_S7_S7_S7_S6_S4_S4_
		.amdhsa_group_segment_fixed_size 6664
		.amdhsa_private_segment_fixed_size 0
		.amdhsa_kernarg_size 176
		.amdhsa_user_sgpr_count 6
		.amdhsa_user_sgpr_private_segment_buffer 1
		.amdhsa_user_sgpr_dispatch_ptr 0
		.amdhsa_user_sgpr_queue_ptr 0
		.amdhsa_user_sgpr_kernarg_segment_ptr 1
		.amdhsa_user_sgpr_dispatch_id 0
		.amdhsa_user_sgpr_flat_scratch_init 0
		.amdhsa_user_sgpr_private_segment_size 0
		.amdhsa_uses_dynamic_stack 0
		.amdhsa_system_sgpr_private_segment_wavefront_offset 0
		.amdhsa_system_sgpr_workgroup_id_x 1
		.amdhsa_system_sgpr_workgroup_id_y 1
		.amdhsa_system_sgpr_workgroup_id_z 0
		.amdhsa_system_sgpr_workgroup_info 0
		.amdhsa_system_vgpr_workitem_id 0
		.amdhsa_next_free_vgpr 43
		.amdhsa_next_free_sgpr 98
		.amdhsa_reserve_vcc 1
		.amdhsa_reserve_flat_scratch 0
		.amdhsa_float_round_mode_32 0
		.amdhsa_float_round_mode_16_64 0
		.amdhsa_float_denorm_mode_32 3
		.amdhsa_float_denorm_mode_16_64 3
		.amdhsa_dx10_clamp 1
		.amdhsa_ieee_mode 1
		.amdhsa_fp16_overflow 0
		.amdhsa_exception_fp_ieee_invalid_op 0
		.amdhsa_exception_fp_denorm_src 0
		.amdhsa_exception_fp_ieee_div_zero 0
		.amdhsa_exception_fp_ieee_overflow 0
		.amdhsa_exception_fp_ieee_underflow 0
		.amdhsa_exception_fp_ieee_inexact 0
		.amdhsa_exception_int_div_zero 0
	.end_amdhsa_kernel
	.section	.text._ZN9rocsolver6v33100L22stebz_bisection_kernelIdPdEEv15rocblas_erange_iT_T0_iiS5_iiPiPS4_lS6_lS6_lS6_S6_S7_S7_S7_S7_S6_S4_S4_,"axG",@progbits,_ZN9rocsolver6v33100L22stebz_bisection_kernelIdPdEEv15rocblas_erange_iT_T0_iiS5_iiPiPS4_lS6_lS6_lS6_S6_S7_S7_S7_S7_S6_S4_S4_,comdat
.Lfunc_end7:
	.size	_ZN9rocsolver6v33100L22stebz_bisection_kernelIdPdEEv15rocblas_erange_iT_T0_iiS5_iiPiPS4_lS6_lS6_lS6_S6_S7_S7_S7_S7_S6_S4_S4_, .Lfunc_end7-_ZN9rocsolver6v33100L22stebz_bisection_kernelIdPdEEv15rocblas_erange_iT_T0_iiS5_iiPiPS4_lS6_lS6_lS6_S6_S7_S7_S7_S7_S6_S4_S4_
                                        ; -- End function
	.set _ZN9rocsolver6v33100L22stebz_bisection_kernelIdPdEEv15rocblas_erange_iT_T0_iiS5_iiPiPS4_lS6_lS6_lS6_S6_S7_S7_S7_S7_S6_S4_S4_.num_vgpr, 43
	.set _ZN9rocsolver6v33100L22stebz_bisection_kernelIdPdEEv15rocblas_erange_iT_T0_iiS5_iiPiPS4_lS6_lS6_lS6_S6_S7_S7_S7_S7_S6_S4_S4_.num_agpr, 0
	.set _ZN9rocsolver6v33100L22stebz_bisection_kernelIdPdEEv15rocblas_erange_iT_T0_iiS5_iiPiPS4_lS6_lS6_lS6_S6_S7_S7_S7_S7_S6_S4_S4_.numbered_sgpr, 96
	.set _ZN9rocsolver6v33100L22stebz_bisection_kernelIdPdEEv15rocblas_erange_iT_T0_iiS5_iiPiPS4_lS6_lS6_lS6_S6_S7_S7_S7_S7_S6_S4_S4_.num_named_barrier, 0
	.set _ZN9rocsolver6v33100L22stebz_bisection_kernelIdPdEEv15rocblas_erange_iT_T0_iiS5_iiPiPS4_lS6_lS6_lS6_S6_S7_S7_S7_S7_S6_S4_S4_.private_seg_size, 0
	.set _ZN9rocsolver6v33100L22stebz_bisection_kernelIdPdEEv15rocblas_erange_iT_T0_iiS5_iiPiPS4_lS6_lS6_lS6_S6_S7_S7_S7_S7_S6_S4_S4_.uses_vcc, 1
	.set _ZN9rocsolver6v33100L22stebz_bisection_kernelIdPdEEv15rocblas_erange_iT_T0_iiS5_iiPiPS4_lS6_lS6_lS6_S6_S7_S7_S7_S7_S6_S4_S4_.uses_flat_scratch, 0
	.set _ZN9rocsolver6v33100L22stebz_bisection_kernelIdPdEEv15rocblas_erange_iT_T0_iiS5_iiPiPS4_lS6_lS6_lS6_S6_S7_S7_S7_S7_S6_S4_S4_.has_dyn_sized_stack, 0
	.set _ZN9rocsolver6v33100L22stebz_bisection_kernelIdPdEEv15rocblas_erange_iT_T0_iiS5_iiPiPS4_lS6_lS6_lS6_S6_S7_S7_S7_S7_S6_S4_S4_.has_recursion, 0
	.set _ZN9rocsolver6v33100L22stebz_bisection_kernelIdPdEEv15rocblas_erange_iT_T0_iiS5_iiPiPS4_lS6_lS6_lS6_S6_S7_S7_S7_S7_S6_S4_S4_.has_indirect_call, 0
	.section	.AMDGPU.csdata,"",@progbits
; Kernel info:
; codeLenInByte = 5376
; TotalNumSgprs: 100
; NumVgprs: 43
; ScratchSize: 0
; MemoryBound: 0
; FloatMode: 240
; IeeeMode: 1
; LDSByteSize: 6664 bytes/workgroup (compile time only)
; SGPRBlocks: 12
; VGPRBlocks: 10
; NumSGPRsForWavesPerEU: 102
; NumVGPRsForWavesPerEU: 43
; Occupancy: 5
; WaveLimiterHint : 1
; COMPUTE_PGM_RSRC2:SCRATCH_EN: 0
; COMPUTE_PGM_RSRC2:USER_SGPR: 6
; COMPUTE_PGM_RSRC2:TRAP_HANDLER: 0
; COMPUTE_PGM_RSRC2:TGID_X_EN: 1
; COMPUTE_PGM_RSRC2:TGID_Y_EN: 1
; COMPUTE_PGM_RSRC2:TGID_Z_EN: 0
; COMPUTE_PGM_RSRC2:TIDIG_COMP_CNT: 0
	.section	.text._ZN9rocsolver6v33100L22stebz_synthesis_kernelIdPdEEv15rocblas_erange_15rocblas_eorder_iiiT0_iiPiS6_PT_lS6_lS6_liS6_S8_S8_S8_S8_S6_S7_,"axG",@progbits,_ZN9rocsolver6v33100L22stebz_synthesis_kernelIdPdEEv15rocblas_erange_15rocblas_eorder_iiiT0_iiPiS6_PT_lS6_lS6_liS6_S8_S8_S8_S8_S6_S7_,comdat
	.globl	_ZN9rocsolver6v33100L22stebz_synthesis_kernelIdPdEEv15rocblas_erange_15rocblas_eorder_iiiT0_iiPiS6_PT_lS6_lS6_liS6_S8_S8_S8_S8_S6_S7_ ; -- Begin function _ZN9rocsolver6v33100L22stebz_synthesis_kernelIdPdEEv15rocblas_erange_15rocblas_eorder_iiiT0_iiPiS6_PT_lS6_lS6_liS6_S8_S8_S8_S8_S6_S7_
	.p2align	8
	.type	_ZN9rocsolver6v33100L22stebz_synthesis_kernelIdPdEEv15rocblas_erange_15rocblas_eorder_iiiT0_iiPiS6_PT_lS6_lS6_liS6_S8_S8_S8_S8_S6_S7_,@function
_ZN9rocsolver6v33100L22stebz_synthesis_kernelIdPdEEv15rocblas_erange_15rocblas_eorder_iiiT0_iiPiS6_PT_lS6_lS6_liS6_S8_S8_S8_S8_S6_S7_: ; @_ZN9rocsolver6v33100L22stebz_synthesis_kernelIdPdEEv15rocblas_erange_15rocblas_eorder_iiiT0_iiPiS6_PT_lS6_lS6_liS6_S8_S8_S8_S8_S6_S7_
; %bb.0:
	s_load_dword s0, s[4:5], 0xb4
	s_load_dword s1, s[4:5], 0x68
	s_waitcnt lgkmcnt(0)
	s_and_b32 s0, s0, 0xffff
	s_mul_i32 s6, s6, s0
	v_add_u32_e32 v4, s6, v0
	v_cmp_gt_i32_e32 vcc, s1, v4
	s_and_saveexec_b64 s[0:1], vcc
	s_cbranch_execz .LBB8_61
; %bb.1:
	s_load_dwordx16 s[8:23], s[4:5], 0x28
	v_ashrrev_i32_e32 v5, 31, v4
	v_lshlrev_b64 v[0:1], 2, v[4:5]
	s_waitcnt lgkmcnt(0)
	v_mov_b32_e32 v3, s11
	v_add_co_u32_e32 v2, vcc, s10, v0
	v_addc_co_u32_e32 v3, vcc, v3, v1, vcc
	global_load_dword v25, v[2:3], off
	v_mul_lo_u32 v10, s15, v4
	v_mul_lo_u32 v11, s14, v5
	v_mad_u64_u32 v[2:3], s[0:1], s14, v4, 0
	v_mul_lo_u32 v13, s19, v4
	v_mul_lo_u32 v15, s18, v5
	v_mad_u64_u32 v[6:7], s[0:1], s18, v4, 0
	s_load_dwordx4 s[36:39], s[4:5], 0x0
	s_load_dword s33, s[4:5], 0x10
	s_load_dwordx8 s[24:31], s[4:5], 0x70
	v_mul_lo_u32 v17, s23, v4
	v_mul_lo_u32 v18, s22, v5
	v_mad_u64_u32 v[8:9], s[0:1], s22, v4, 0
	v_add3_u32 v3, v3, v11, v10
	v_lshlrev_b64 v[2:3], 3, v[2:3]
	s_waitcnt lgkmcnt(0)
	v_mul_lo_u32 v12, v4, s38
	v_add3_u32 v7, v7, v15, v13
	v_mov_b32_e32 v14, s13
	v_lshlrev_b64 v[10:11], 2, v[6:7]
	v_add_co_u32_e32 v28, vcc, s12, v2
	v_add3_u32 v9, v9, v18, v17
	v_addc_co_u32_e32 v29, vcc, v14, v3, vcc
	v_mov_b32_e32 v16, s17
	v_lshlrev_b64 v[6:7], 2, v[8:9]
	v_add_co_u32_e32 v30, vcc, s16, v10
	v_ashrrev_i32_e32 v13, 31, v12
	v_addc_co_u32_e32 v31, vcc, v16, v11, vcc
	v_mov_b32_e32 v19, s21
	v_lshlrev_b64 v[8:9], 2, v[12:13]
	v_add_co_u32_e32 v27, vcc, s20, v6
	v_addc_co_u32_e32 v33, vcc, v19, v7, vcc
	v_mov_b32_e32 v20, s25
	v_add_co_u32_e32 v26, vcc, s24, v8
	v_addc_co_u32_e32 v32, vcc, v20, v9, vcc
	s_cmpk_eq_i32 s36, 0xe9
	s_waitcnt vmcnt(0)
	v_cmp_lt_i32_e32 vcc, 0, v25
	v_cmp_gt_i32_e64 s[0:1], 1, v25
	s_cbranch_scc1 .LBB8_12
; %bb.2:
	v_mov_b32_e32 v8, 0
	s_and_saveexec_b64 s[6:7], vcc
	s_cbranch_execz .LBB8_14
; %bb.3:
	v_mov_b32_e32 v6, s13
	v_add_co_u32_e32 v20, vcc, s12, v2
	v_addc_co_u32_e32 v21, vcc, v6, v3, vcc
	v_mov_b32_e32 v6, s17
	v_add_co_u32_e32 v22, vcc, s16, v10
	s_mov_b32 s15, 0
	v_addc_co_u32_e32 v23, vcc, v6, v11, vcc
	s_mov_b64 s[10:11], 0
	v_mov_b32_e32 v8, 0
	s_mov_b32 s14, s15
	s_branch .LBB8_5
.LBB8_4:                                ;   in Loop: Header=BB8_5 Depth=1
	s_or_b64 exec, exec, s[18:19]
	s_add_i32 s14, s14, 1
	v_cmp_eq_u32_e32 vcc, s14, v25
	s_or_b64 s[10:11], vcc, s[10:11]
	s_andn2_b64 exec, exec, s[10:11]
	s_cbranch_execz .LBB8_13
.LBB8_5:                                ; =>This Loop Header: Depth=1
                                        ;     Child Loop BB8_10 Depth 2
	s_cmp_eq_u32 s14, 0
	s_cbranch_scc1 .LBB8_7
; %bb.6:                                ;   in Loop: Header=BB8_5 Depth=1
	s_lshl_b64 s[2:3], s[14:15], 2
	v_mov_b32_e32 v7, s3
	v_add_co_u32_e32 v6, vcc, s2, v27
	v_addc_co_u32_e32 v7, vcc, v33, v7, vcc
	global_load_dword v14, v[6:7], off offset:-4
	s_mov_b64 s[2:3], s[14:15]
	s_branch .LBB8_8
.LBB8_7:                                ;   in Loop: Header=BB8_5 Depth=1
	v_mov_b32_e32 v14, 0
	s_mov_b64 s[2:3], 0
.LBB8_8:                                ;   in Loop: Header=BB8_5 Depth=1
	s_lshl_b64 s[2:3], s[2:3], 2
	v_mov_b32_e32 v7, s3
	v_add_co_u32_e32 v6, vcc, s2, v26
	v_addc_co_u32_e32 v7, vcc, v32, v7, vcc
	global_load_dword v9, v[6:7], off
	s_waitcnt vmcnt(0)
	v_cmp_lt_i32_e32 vcc, 0, v9
	s_and_saveexec_b64 s[18:19], vcc
	s_cbranch_execz .LBB8_4
; %bb.9:                                ;   in Loop: Header=BB8_5 Depth=1
	v_ashrrev_i32_e32 v15, 31, v14
	v_lshlrev_b64 v[12:13], 3, v[14:15]
	v_lshlrev_b64 v[14:15], 2, v[14:15]
	v_add_co_u32_e32 v12, vcc, v20, v12
	v_addc_co_u32_e32 v13, vcc, v21, v13, vcc
	v_ashrrev_i32_e32 v9, 31, v8
	v_add_co_u32_e32 v14, vcc, v22, v14
	v_lshlrev_b64 v[16:17], 3, v[8:9]
	v_addc_co_u32_e32 v15, vcc, v23, v15, vcc
	v_add_co_u32_e32 v16, vcc, v20, v16
	v_lshlrev_b64 v[18:19], 2, v[8:9]
	v_addc_co_u32_e32 v17, vcc, v21, v17, vcc
	v_add_co_u32_e32 v18, vcc, v22, v18
	v_addc_co_u32_e32 v19, vcc, v23, v19, vcc
	s_mov_b32 s22, 0
	s_mov_b64 s[20:21], 0
.LBB8_10:                               ;   Parent Loop BB8_5 Depth=1
                                        ; =>  This Inner Loop Header: Depth=2
	global_load_dword v9, v[14:15], off
	s_add_i32 s22, s22, 1
	s_waitcnt vmcnt(0)
	global_store_dword v[18:19], v9, off
	global_load_dword v24, v[6:7], off
	global_load_dwordx2 v[34:35], v[12:13], off
	v_add_co_u32_e32 v12, vcc, 8, v12
	v_addc_co_u32_e32 v13, vcc, 0, v13, vcc
	v_add_co_u32_e32 v14, vcc, 4, v14
	v_addc_co_u32_e32 v15, vcc, 0, v15, vcc
	v_add_u32_e32 v9, s22, v8
	s_waitcnt vmcnt(1)
	v_cmp_ge_i32_e64 s[2:3], s22, v24
	s_waitcnt vmcnt(0)
	global_store_dwordx2 v[16:17], v[34:35], off
	v_add_co_u32_e32 v16, vcc, 8, v16
	v_addc_co_u32_e32 v17, vcc, 0, v17, vcc
	v_add_co_u32_e32 v18, vcc, 4, v18
	s_or_b64 s[20:21], s[2:3], s[20:21]
	v_addc_co_u32_e32 v19, vcc, 0, v19, vcc
	s_andn2_b64 exec, exec, s[20:21]
	s_cbranch_execnz .LBB8_10
; %bb.11:                               ;   in Loop: Header=BB8_5 Depth=1
	s_or_b64 exec, exec, s[20:21]
	v_mov_b32_e32 v8, v9
	s_branch .LBB8_4
.LBB8_12:
                                        ; implicit-def: $vgpr8
	s_branch .LBB8_15
.LBB8_13:
	s_or_b64 exec, exec, s[10:11]
.LBB8_14:
	s_or_b64 exec, exec, s[6:7]
	s_cbranch_execnz .LBB8_53
.LBB8_15:
	v_lshlrev_b64 v[5:6], 3, v[4:5]
	v_mov_b32_e32 v7, s27
	v_add_co_u32_e32 v5, vcc, s26, v5
	v_addc_co_u32_e32 v6, vcc, v7, v6, vcc
	global_load_dwordx2 v[5:6], v[5:6], off
	v_lshlrev_b32_e32 v12, 1, v4
	s_load_dwordx4 s[20:23], s[4:5], 0x90
	v_mul_lo_u32 v8, v12, s38
                                        ; implicit-def: $sgpr6_sgpr7
	v_ashrrev_i32_e32 v9, 31, v8
	s_and_saveexec_b64 s[2:3], s[0:1]
	s_xor_b64 s[0:1], exec, s[2:3]
; %bb.16:
	s_ashr_i32 s7, s38, 31
	s_mov_b32 s6, s38
                                        ; implicit-def: $vgpr25
                                        ; implicit-def: $vgpr26
                                        ; implicit-def: $vgpr32
                                        ; implicit-def: $vgpr27
                                        ; implicit-def: $vgpr33
                                        ; implicit-def: $vgpr10_vgpr11
; %bb.17:
	s_or_saveexec_b64 s[2:3], s[0:1]
	v_lshlrev_b64 v[13:14], 3, v[8:9]
	v_lshlrev_b64 v[15:16], 2, v[8:9]
	v_mov_b32_e32 v9, s7
	v_mov_b32_e32 v7, 0
	;; [unrolled: 1-line block ×3, first 2 shown]
	s_xor_b64 exec, exec, s[2:3]
	s_cbranch_execz .LBB8_28
; %bb.18:
	v_mov_b32_e32 v7, s13
	v_add_co_u32_e32 v34, vcc, s12, v2
	v_addc_co_u32_e32 v35, vcc, v7, v3, vcc
	v_mov_b32_e32 v7, s17
	v_add_co_u32_e32 v36, vcc, s16, v10
	v_addc_co_u32_e32 v11, vcc, v7, v11, vcc
	s_waitcnt lgkmcnt(0)
	v_mov_b32_e32 v7, s21
	v_add_co_u32_e32 v37, vcc, s20, v13
	v_addc_co_u32_e32 v38, vcc, v7, v14, vcc
	s_ashr_i32 s7, s38, 31
	s_mov_b32 s6, s38
	v_mov_b32_e32 v7, s23
	v_add_co_u32_e32 v39, vcc, s22, v15
	s_mov_b32 s19, 0
	s_lshl_b64 s[10:11], s[6:7], 3
	v_addc_co_u32_e32 v40, vcc, v7, v16, vcc
	s_mov_b64 s[14:15], 0
	v_mov_b32_e32 v7, 0
	s_mov_b32 s18, s19
	s_branch .LBB8_20
.LBB8_19:                               ;   in Loop: Header=BB8_20 Depth=1
	s_or_b64 exec, exec, s[24:25]
	s_add_i32 s18, s18, 1
	v_cmp_eq_u32_e32 vcc, s18, v25
	s_or_b64 s[14:15], vcc, s[14:15]
	s_andn2_b64 exec, exec, s[14:15]
	s_cbranch_execz .LBB8_27
.LBB8_20:                               ; =>This Loop Header: Depth=1
                                        ;     Child Loop BB8_25 Depth 2
	s_cmp_eq_u32 s18, 0
	s_cbranch_scc1 .LBB8_22
; %bb.21:                               ;   in Loop: Header=BB8_20 Depth=1
	s_lshl_b64 s[0:1], s[18:19], 2
	v_mov_b32_e32 v9, s1
	v_add_co_u32_e32 v8, vcc, s0, v27
	v_addc_co_u32_e32 v9, vcc, v33, v9, vcc
	global_load_dword v19, v[8:9], off offset:-4
	s_mov_b64 s[0:1], s[18:19]
	s_branch .LBB8_23
.LBB8_22:                               ;   in Loop: Header=BB8_20 Depth=1
	v_mov_b32_e32 v19, 0
	s_mov_b64 s[0:1], 0
.LBB8_23:                               ;   in Loop: Header=BB8_20 Depth=1
	s_lshl_b64 s[0:1], s[0:1], 2
	v_mov_b32_e32 v8, s1
	v_add_co_u32_e32 v9, vcc, s0, v26
	v_addc_co_u32_e32 v10, vcc, v32, v8, vcc
	global_load_dword v8, v[9:10], off
	s_waitcnt vmcnt(0)
	v_cmp_lt_i32_e32 vcc, 0, v8
	s_and_saveexec_b64 s[24:25], vcc
	s_cbranch_execz .LBB8_19
; %bb.24:                               ;   in Loop: Header=BB8_20 Depth=1
	v_ashrrev_i32_e32 v20, 31, v19
	v_lshlrev_b64 v[17:18], 3, v[19:20]
	v_lshlrev_b64 v[19:20], 2, v[19:20]
	v_add_co_u32_e32 v17, vcc, v34, v17
	v_addc_co_u32_e32 v18, vcc, v35, v18, vcc
	v_ashrrev_i32_e32 v8, 31, v7
	v_add_co_u32_e32 v19, vcc, v36, v19
	v_lshlrev_b64 v[21:22], 3, v[7:8]
	v_addc_co_u32_e32 v20, vcc, v11, v20, vcc
	v_add_co_u32_e32 v21, vcc, v37, v21
	v_lshlrev_b64 v[23:24], 2, v[7:8]
	v_addc_co_u32_e32 v22, vcc, v38, v22, vcc
	v_add_co_u32_e32 v23, vcc, v39, v23
	v_addc_co_u32_e32 v24, vcc, v40, v24, vcc
	s_mov_b32 s34, 0
	s_mov_b64 s[26:27], 0
.LBB8_25:                               ;   Parent Loop BB8_20 Depth=1
                                        ; =>  This Inner Loop Header: Depth=2
	global_load_dword v8, v[19:20], off
	s_add_i32 s34, s34, 1
	s_waitcnt vmcnt(0)
	global_store_dword v[23:24], v8, off
	global_load_dword v45, v[9:10], off
	global_load_dwordx2 v[41:42], v[17:18], off
	v_add_co_u32_e32 v17, vcc, 8, v17
	v_addc_co_u32_e32 v18, vcc, 0, v18, vcc
	v_add_co_u32_e32 v19, vcc, 4, v19
	v_addc_co_u32_e32 v20, vcc, 0, v20, vcc
	v_mov_b32_e32 v8, s11
	v_add_co_u32_e32 v43, vcc, s10, v21
	v_addc_co_u32_e32 v44, vcc, v22, v8, vcc
	v_add_u32_e32 v8, s34, v7
	s_waitcnt vmcnt(0)
	global_store_dwordx2 v[21:22], v[41:42], off
	global_store_dwordx2 v[43:44], v[41:42], off
	v_add_co_u32_e32 v21, vcc, 8, v21
	v_addc_co_u32_e32 v22, vcc, 0, v22, vcc
	v_add_co_u32_e32 v23, vcc, 4, v23
	v_cmp_ge_i32_e64 s[0:1], s34, v45
	s_or_b64 s[26:27], s[0:1], s[26:27]
	v_addc_co_u32_e32 v24, vcc, 0, v24, vcc
	s_andn2_b64 exec, exec, s[26:27]
	s_cbranch_execnz .LBB8_25
; %bb.26:                               ;   in Loop: Header=BB8_20 Depth=1
	s_or_b64 exec, exec, s[26:27]
	v_mov_b32_e32 v7, v8
	s_branch .LBB8_19
.LBB8_27:
	s_or_b64 exec, exec, s[14:15]
	v_mov_b32_e32 v9, s7
	v_mov_b32_e32 v8, s6
.LBB8_28:
	s_or_b64 exec, exec, s[2:3]
; %bb.29:
	s_waitcnt lgkmcnt(0)
	v_mov_b32_e32 v10, s21
	v_add_co_u32_e32 v32, vcc, s20, v13
	v_addc_co_u32_e32 v33, vcc, v10, v14, vcc
	v_mov_b32_e32 v10, s23
	v_add_co_u32_e32 v34, vcc, s22, v15
	v_addc_co_u32_e32 v35, vcc, v10, v16, vcc
	v_lshlrev_b64 v[15:16], 3, v[8:9]
	s_mov_b32 s2, 1
	v_add_co_u32_e32 v10, vcc, v32, v15
	v_addc_co_u32_e32 v11, vcc, v33, v16, vcc
	v_cmp_lt_i32_e32 vcc, 1, v7
	s_and_saveexec_b64 s[6:7], vcc
	s_cbranch_execz .LBB8_37
; %bb.30:
	v_lshlrev_b64 v[8:9], 2, v[8:9]
	s_cmp_lg_u64 s[22:23], 0
	v_add_co_u32_e32 v23, vcc, v34, v8
	v_addc_co_u32_e32 v24, vcc, v35, v9, vcc
	v_add_co_u32_e32 v8, vcc, v15, v13
	v_addc_co_u32_e32 v9, vcc, v16, v14, vcc
	v_mov_b32_e32 v13, s21
	v_add_co_u32_e32 v8, vcc, s20, v8
	v_addc_co_u32_e32 v9, vcc, v13, v9, vcc
	v_add_co_u32_e32 v8, vcc, 8, v8
	s_mov_b64 s[10:11], 0
	s_cselect_b64 s[14:15], -1, 0
	v_addc_co_u32_e32 v9, vcc, 0, v9, vcc
	s_branch .LBB8_32
.LBB8_31:                               ;   in Loop: Header=BB8_32 Depth=1
	s_or_b64 exec, exec, s[0:1]
	s_add_i32 s2, s2, 1
	v_cmp_eq_u32_e32 vcc, s2, v7
	s_or_b64 s[10:11], vcc, s[10:11]
	v_add_co_u32_e32 v8, vcc, 8, v8
	v_addc_co_u32_e32 v9, vcc, 0, v9, vcc
	s_andn2_b64 exec, exec, s[10:11]
	s_cbranch_execz .LBB8_37
.LBB8_32:                               ; =>This Loop Header: Depth=1
                                        ;     Child Loop BB8_33 Depth 2
	s_ashr_i32 s3, s2, 31
	s_lshl_b64 s[0:1], s[2:3], 3
	v_mov_b32_e32 v13, s1
	v_add_co_u32_e32 v15, vcc, s0, v10
	v_addc_co_u32_e32 v16, vcc, v11, v13, vcc
	global_load_dwordx2 v[17:18], v[15:16], off offset:-8
	s_add_i32 s20, s2, -1
	v_mov_b32_e32 v22, v9
	v_mov_b32_e32 v13, s20
	s_mov_b64 s[18:19], 0
	v_mov_b32_e32 v21, v8
	s_mov_b32 s21, s2
	s_waitcnt vmcnt(0)
	v_mov_b32_e32 v20, v18
	v_mov_b32_e32 v19, v17
.LBB8_33:                               ;   Parent Loop BB8_32 Depth=1
                                        ; =>  This Inner Loop Header: Depth=2
	global_load_dwordx2 v[25:26], v[21:22], off
	v_add_co_u32_e64 v21, s[0:1], 8, v21
	v_mov_b32_e32 v14, s21
	s_add_i32 s21, s21, 1
	v_addc_co_u32_e64 v22, s[0:1], 0, v22, s[0:1]
	v_cmp_eq_u32_e64 s[0:1], s21, v7
	s_or_b64 s[18:19], s[0:1], s[18:19]
	s_waitcnt vmcnt(0)
	v_cmp_lt_f64_e32 vcc, v[25:26], v[19:20]
	v_cndmask_b32_e32 v20, v20, v26, vcc
	v_cndmask_b32_e32 v19, v19, v25, vcc
	;; [unrolled: 1-line block ×3, first 2 shown]
	s_andn2_b64 exec, exec, s[18:19]
	s_cbranch_execnz .LBB8_33
; %bb.34:                               ;   in Loop: Header=BB8_32 Depth=1
	s_or_b64 exec, exec, s[18:19]
	v_cmp_ne_u32_e32 vcc, s20, v13
	s_and_saveexec_b64 s[0:1], vcc
	s_cbranch_execz .LBB8_31
; %bb.35:                               ;   in Loop: Header=BB8_32 Depth=1
	v_ashrrev_i32_e32 v14, 31, v13
	v_lshlrev_b64 v[21:22], 3, v[13:14]
	v_add_co_u32_e32 v21, vcc, v10, v21
	v_addc_co_u32_e32 v22, vcc, v11, v22, vcc
	s_andn2_b64 vcc, exec, s[14:15]
	global_store_dwordx2 v[21:22], v[17:18], off
	global_store_dwordx2 v[15:16], v[19:20], off offset:-8
	s_cbranch_vccnz .LBB8_31
; %bb.36:                               ;   in Loop: Header=BB8_32 Depth=1
	s_lshl_b64 s[18:19], s[2:3], 2
	v_mov_b32_e32 v16, s19
	v_add_co_u32_e32 v15, vcc, s18, v23
	v_lshlrev_b64 v[13:14], 2, v[13:14]
	v_addc_co_u32_e32 v16, vcc, v24, v16, vcc
	v_add_co_u32_e32 v13, vcc, v23, v13
	v_addc_co_u32_e32 v14, vcc, v24, v14, vcc
	global_load_dword v17, v[15:16], off offset:-4
	global_load_dword v18, v[13:14], off
	s_waitcnt vmcnt(1)
	global_store_dword v[13:14], v17, off
	s_waitcnt vmcnt(1)
	global_store_dword v[15:16], v18, off offset:-4
	s_branch .LBB8_31
.LBB8_37:
	s_or_b64 exec, exec, s[6:7]
	v_mov_b32_e32 v8, 0
	v_cmp_lt_i32_e32 vcc, 0, v7
	s_and_saveexec_b64 s[6:7], vcc
	s_cbranch_execz .LBB8_52
; %bb.38:
	s_load_dwordx4 s[0:3], s[4:5], 0x18
	s_add_i32 s24, s38, -1
	v_mul_lo_u32 v16, v4, s24
	v_mov_b32_e32 v18, s31
	s_mov_b32 s15, 0
	s_waitcnt lgkmcnt(0)
	v_mad_i64_i32 v[8:9], s[10:11], v4, s3, 0
	s_ashr_i32 s5, s2, 31
	s_mov_b32 s4, s2
	v_lshlrev_b64 v[8:9], 3, v[8:9]
	v_mov_b32_e32 v13, s1
	v_add_co_u32_e32 v14, vcc, s0, v8
	s_lshl_b64 s[2:3], s[4:5], 3
	v_addc_co_u32_e32 v13, vcc, v13, v9, vcc
	v_ashrrev_i32_e32 v17, 31, v16
	v_mov_b32_e32 v15, s3
	v_add_co_u32_e32 v14, vcc, s2, v14
	v_lshlrev_b64 v[16:17], 3, v[16:17]
	v_addc_co_u32_e32 v15, vcc, v13, v15, vcc
	v_ashrrev_i32_e32 v13, 31, v12
	v_mov_b32_e32 v4, s29
	v_add_co_u32_e32 v16, vcc, s28, v16
	v_lshlrev_b64 v[12:13], 3, v[12:13]
	v_addc_co_u32_e32 v17, vcc, v4, v17, vcc
	s_cmp_gt_i32 s38, 1
	v_add_co_u32_e32 v4, vcc, s30, v12
	s_cselect_b64 s[4:5], -1, 0
	s_add_u32 s0, s0, s2
	v_addc_co_u32_e32 v36, vcc, v18, v13, vcc
	s_addc_u32 s1, s1, s3
	v_mov_b32_e32 v12, s1
	v_add_co_u32_e32 v8, vcc, s0, v8
	v_addc_co_u32_e32 v9, vcc, v12, v9, vcc
	v_add_co_u32_e32 v12, vcc, 8, v8
	v_add_u32_e32 v37, -1, v7
	v_addc_co_u32_e32 v13, vcc, 0, v9, vcc
	s_mov_b64 s[10:11], 0
	v_mov_b32_e32 v8, 0
	s_mov_b32 s14, s15
	s_branch .LBB8_41
.LBB8_39:                               ;   in Loop: Header=BB8_41 Depth=1
	s_or_b64 exec, exec, s[0:1]
.LBB8_40:                               ;   in Loop: Header=BB8_41 Depth=1
	s_or_b64 exec, exec, s[18:19]
	s_add_i32 s14, s14, 1
	v_cmp_eq_u32_e32 vcc, s14, v7
	s_or_b64 s[10:11], vcc, s[10:11]
	s_andn2_b64 exec, exec, s[10:11]
	s_cbranch_execz .LBB8_51
.LBB8_41:                               ; =>This Loop Header: Depth=1
                                        ;     Child Loop BB8_43 Depth 2
                                        ;     Child Loop BB8_48 Depth 2
	s_lshl_b64 s[0:1], s[14:15], 3
	v_mov_b32_e32 v9, s1
	v_add_co_u32_e32 v18, vcc, s0, v32
	v_addc_co_u32_e32 v19, vcc, v33, v9, vcc
	global_load_dwordx2 v[18:19], v[18:19], off
	v_mov_b32_e32 v25, v11
	s_mov_b64 s[2:3], 0
	v_mov_b32_e32 v24, v10
	s_mov_b32 s25, s15
                                        ; implicit-def: $sgpr0_sgpr1
                                        ; implicit-def: $sgpr20_sgpr21
                                        ; implicit-def: $sgpr18_sgpr19
	s_branch .LBB8_43
.LBB8_42:                               ;   in Loop: Header=BB8_43 Depth=2
	s_or_b64 exec, exec, s[22:23]
	s_and_b64 s[22:23], exec, s[20:21]
	s_or_b64 s[2:3], s[22:23], s[2:3]
	s_andn2_b64 s[0:1], s[0:1], exec
	s_and_b64 s[22:23], s[18:19], exec
	v_mov_b32_e32 v9, s25
	s_or_b64 s[0:1], s[0:1], s[22:23]
	s_mov_b32 s25, s26
	s_andn2_b64 exec, exec, s[2:3]
	s_cbranch_execz .LBB8_45
.LBB8_43:                               ;   Parent Loop BB8_41 Depth=1
                                        ; =>  This Inner Loop Header: Depth=2
	global_load_dwordx2 v[20:21], v[24:25], off
	v_mov_b32_e32 v22, v24
	v_mov_b32_e32 v23, v25
	s_or_b64 s[18:19], s[18:19], exec
	s_or_b64 s[20:21], s[20:21], exec
                                        ; implicit-def: $sgpr26
                                        ; implicit-def: $vgpr24_vgpr25
	s_waitcnt vmcnt(0)
	v_cmp_neq_f64_e32 vcc, v[18:19], v[20:21]
	s_and_saveexec_b64 s[22:23], vcc
	s_cbranch_execz .LBB8_42
; %bb.44:                               ;   in Loop: Header=BB8_43 Depth=2
	v_add_co_u32_e32 v24, vcc, 8, v22
	s_add_i32 s26, s25, 1
	v_addc_co_u32_e32 v25, vcc, 0, v23, vcc
	v_cmp_eq_u32_e32 vcc, s26, v7
	s_andn2_b64 s[20:21], s[20:21], exec
	s_and_b64 s[28:29], vcc, exec
	s_andn2_b64 s[18:19], s[18:19], exec
	s_or_b64 s[20:21], s[20:21], s[28:29]
	s_branch .LBB8_42
.LBB8_45:                               ;   in Loop: Header=BB8_41 Depth=1
	s_or_b64 exec, exec, s[2:3]
	s_and_saveexec_b64 s[2:3], s[0:1]
	s_xor_b64 s[18:19], exec, s[2:3]
	s_cbranch_execz .LBB8_40
; %bb.46:                               ;   in Loop: Header=BB8_41 Depth=1
	v_cmp_eq_u32_e32 vcc, v9, v37
	v_cndmask_b32_e32 v23, v23, v36, vcc
	v_cndmask_b32_e32 v22, v22, v4, vcc
	global_load_dwordx2 v[22:23], v[22:23], off offset:8
	s_nop 0
	global_load_dwordx2 v[24:25], v[14:15], off
	s_andn2_b64 vcc, exec, s[4:5]
	s_waitcnt vmcnt(1)
	v_add_f64 v[20:21], v[22:23], -v[20:21]
	v_fma_f64 v[20:21], v[20:21], 0.5, v[18:19]
	s_waitcnt vmcnt(0)
	v_add_f64 v[26:27], v[24:25], -v[20:21]
	v_cmp_le_f64_e64 s[0:1], v[26:27], v[5:6]
	v_cndmask_b32_e64 v9, 0, 1, s[0:1]
	s_cbranch_vccnz .LBB8_49
; %bb.47:                               ;   in Loop: Header=BB8_41 Depth=1
	v_cmp_gt_f64_e64 s[2:3], v[26:27], -v[5:6]
	v_xor_b32_e32 v38, 0x80000000, v6
	v_mov_b32_e32 v23, v17
	v_mov_b32_e32 v25, v13
	;; [unrolled: 1-line block ×4, first 2 shown]
	s_mov_b32 s20, s24
	s_and_b64 vcc, s[0:1], s[2:3]
	v_cndmask_b32_e32 v27, v27, v38, vcc
	v_cndmask_b32_e32 v26, v26, v5, vcc
.LBB8_48:                               ;   Parent Loop BB8_41 Depth=1
                                        ; =>  This Inner Loop Header: Depth=2
	global_load_dwordx2 v[39:40], v[22:23], off
	global_load_dwordx2 v[43:44], v[24:25], off
	s_add_i32 s20, s20, -1
	s_waitcnt vmcnt(1)
	v_div_scale_f64 v[41:42], s[0:1], v[26:27], v[26:27], v[39:40]
	s_waitcnt vmcnt(0)
	v_add_f64 v[43:44], v[43:44], -v[20:21]
	v_add_co_u32_e64 v22, s[0:1], 8, v22
	v_rcp_f64_e32 v[45:46], v[41:42]
	v_fma_f64 v[47:48], -v[41:42], v[45:46], 1.0
	v_fma_f64 v[45:46], v[45:46], v[47:48], v[45:46]
	v_div_scale_f64 v[47:48], vcc, v[39:40], v[26:27], v[39:40]
	v_fma_f64 v[49:50], -v[41:42], v[45:46], 1.0
	v_fma_f64 v[45:46], v[45:46], v[49:50], v[45:46]
	v_mul_f64 v[49:50], v[47:48], v[45:46]
	v_fma_f64 v[41:42], -v[41:42], v[49:50], v[47:48]
	v_div_fmas_f64 v[41:42], v[41:42], v[45:46], v[49:50]
	v_add_co_u32_e32 v24, vcc, 8, v24
	v_addc_co_u32_e32 v25, vcc, 0, v25, vcc
	v_addc_co_u32_e64 v23, vcc, 0, v23, s[0:1]
	v_div_fixup_f64 v[26:27], v[41:42], v[26:27], v[39:40]
	v_add_f64 v[26:27], v[43:44], -v[26:27]
	v_cmp_le_f64_e64 s[2:3], v[26:27], v[5:6]
	v_cmp_gt_f64_e64 s[22:23], v[26:27], -v[5:6]
	v_addc_co_u32_e64 v9, vcc, 0, v9, s[2:3]
	s_and_b64 vcc, s[2:3], s[22:23]
	v_cndmask_b32_e32 v27, v27, v38, vcc
	s_cmp_lg_u32 s20, 0
	v_cndmask_b32_e32 v26, v26, v5, vcc
	s_cbranch_scc1 .LBB8_48
.LBB8_49:                               ;   in Loop: Header=BB8_41 Depth=1
	v_cmp_le_i32_e32 vcc, s39, v9
	v_cmp_ge_i32_e64 s[0:1], s33, v9
	s_and_b64 s[2:3], vcc, s[0:1]
	s_and_saveexec_b64 s[0:1], s[2:3]
	s_cbranch_execz .LBB8_39
; %bb.50:                               ;   in Loop: Header=BB8_41 Depth=1
	s_lshl_b64 s[2:3], s[14:15], 2
	v_mov_b32_e32 v9, s3
	v_add_co_u32_e32 v20, vcc, s2, v34
	v_addc_co_u32_e32 v21, vcc, v35, v9, vcc
	global_load_dword v24, v[20:21], off
	v_ashrrev_i32_e32 v9, 31, v8
	v_lshlrev_b64 v[20:21], 3, v[8:9]
	v_lshlrev_b64 v[22:23], 2, v[8:9]
	v_add_co_u32_e32 v20, vcc, v28, v20
	v_addc_co_u32_e32 v21, vcc, v29, v21, vcc
	v_add_co_u32_e32 v22, vcc, v30, v22
	v_add_u32_e32 v8, 1, v8
	v_addc_co_u32_e32 v23, vcc, v31, v23, vcc
	global_store_dwordx2 v[20:21], v[18:19], off
	s_waitcnt vmcnt(1)
	global_store_dword v[22:23], v24, off
	s_branch .LBB8_39
.LBB8_51:
	s_or_b64 exec, exec, s[10:11]
.LBB8_52:
	s_or_b64 exec, exec, s[6:7]
.LBB8_53:
	v_mov_b32_e32 v4, s9
	v_add_co_u32_e32 v0, vcc, s8, v0
	v_addc_co_u32_e32 v1, vcc, v4, v1, vcc
	s_cmpk_eq_i32 s37, 0xf2
	s_cselect_b64 s[0:1], -1, 0
	v_cmp_lt_i32_e32 vcc, 1, v8
	s_mov_b32 s2, 1
	s_and_b64 s[0:1], s[0:1], vcc
	global_store_dword v[0:1], v8, off
	s_and_b64 exec, exec, s[0:1]
	s_cbranch_execz .LBB8_61
; %bb.54:
	v_mov_b32_e32 v0, s13
	v_add_co_u32_e32 v1, vcc, s12, v2
	v_addc_co_u32_e32 v2, vcc, v0, v3, vcc
	s_cmp_lg_u64 s[16:17], 0
	v_add_co_u32_e32 v0, vcc, 8, v1
	s_mov_b64 s[4:5], 0
	s_cselect_b64 s[6:7], -1, 0
	v_addc_co_u32_e32 v1, vcc, 0, v2, vcc
	s_branch .LBB8_56
.LBB8_55:                               ;   in Loop: Header=BB8_56 Depth=1
	s_or_b64 exec, exec, s[0:1]
	s_add_i32 s2, s2, 1
	v_cmp_eq_u32_e32 vcc, s2, v8
	s_or_b64 s[4:5], vcc, s[4:5]
	v_add_co_u32_e32 v0, vcc, 8, v0
	v_addc_co_u32_e32 v1, vcc, 0, v1, vcc
	s_andn2_b64 exec, exec, s[4:5]
	s_cbranch_execz .LBB8_61
.LBB8_56:                               ; =>This Loop Header: Depth=1
                                        ;     Child Loop BB8_57 Depth 2
	s_ashr_i32 s3, s2, 31
	s_lshl_b64 s[0:1], s[2:3], 3
	v_mov_b32_e32 v2, s1
	v_add_co_u32_e32 v4, vcc, s0, v28
	s_waitcnt vmcnt(1)
	v_addc_co_u32_e32 v5, vcc, v29, v2, vcc
	global_load_dwordx2 v[6:7], v[4:5], off offset:-8
	s_add_i32 s10, s2, -1
	v_mov_b32_e32 v12, v1
	v_mov_b32_e32 v2, s10
	s_mov_b64 s[8:9], 0
	v_mov_b32_e32 v11, v0
	s_mov_b32 s11, s2
	s_waitcnt vmcnt(0)
	v_mov_b32_e32 v10, v7
	v_mov_b32_e32 v9, v6
.LBB8_57:                               ;   Parent Loop BB8_56 Depth=1
                                        ; =>  This Inner Loop Header: Depth=2
	global_load_dwordx2 v[13:14], v[11:12], off
	v_add_co_u32_e64 v11, s[0:1], 8, v11
	v_mov_b32_e32 v3, s11
	s_add_i32 s11, s11, 1
	v_addc_co_u32_e64 v12, s[0:1], 0, v12, s[0:1]
	v_cmp_eq_u32_e64 s[0:1], s11, v8
	s_or_b64 s[8:9], s[0:1], s[8:9]
	s_waitcnt vmcnt(0)
	v_cmp_lt_f64_e32 vcc, v[13:14], v[9:10]
	v_cndmask_b32_e32 v10, v10, v14, vcc
	v_cndmask_b32_e32 v9, v9, v13, vcc
	v_cndmask_b32_e32 v2, v2, v3, vcc
	s_andn2_b64 exec, exec, s[8:9]
	s_cbranch_execnz .LBB8_57
; %bb.58:                               ;   in Loop: Header=BB8_56 Depth=1
	s_or_b64 exec, exec, s[8:9]
	v_cmp_ne_u32_e32 vcc, s10, v2
	s_and_saveexec_b64 s[0:1], vcc
	s_cbranch_execz .LBB8_55
; %bb.59:                               ;   in Loop: Header=BB8_56 Depth=1
	v_ashrrev_i32_e32 v3, 31, v2
	v_lshlrev_b64 v[11:12], 3, v[2:3]
	v_add_co_u32_e32 v11, vcc, v28, v11
	v_addc_co_u32_e32 v12, vcc, v29, v12, vcc
	s_andn2_b64 vcc, exec, s[6:7]
	global_store_dwordx2 v[11:12], v[6:7], off
	global_store_dwordx2 v[4:5], v[9:10], off offset:-8
	s_cbranch_vccnz .LBB8_55
; %bb.60:                               ;   in Loop: Header=BB8_56 Depth=1
	s_lshl_b64 s[8:9], s[2:3], 2
	v_mov_b32_e32 v5, s9
	v_add_co_u32_e32 v4, vcc, s8, v30
	v_lshlrev_b64 v[2:3], 2, v[2:3]
	v_addc_co_u32_e32 v5, vcc, v31, v5, vcc
	v_add_co_u32_e32 v2, vcc, v30, v2
	v_addc_co_u32_e32 v3, vcc, v31, v3, vcc
	global_load_dword v6, v[4:5], off offset:-4
	global_load_dword v7, v[2:3], off
	s_waitcnt vmcnt(1)
	global_store_dword v[2:3], v6, off
	s_waitcnt vmcnt(1)
	global_store_dword v[4:5], v7, off offset:-4
	s_branch .LBB8_55
.LBB8_61:
	s_endpgm
	.section	.rodata,"a",@progbits
	.p2align	6, 0x0
	.amdhsa_kernel _ZN9rocsolver6v33100L22stebz_synthesis_kernelIdPdEEv15rocblas_erange_15rocblas_eorder_iiiT0_iiPiS6_PT_lS6_lS6_liS6_S8_S8_S8_S8_S6_S7_
		.amdhsa_group_segment_fixed_size 0
		.amdhsa_private_segment_fixed_size 0
		.amdhsa_kernarg_size 424
		.amdhsa_user_sgpr_count 6
		.amdhsa_user_sgpr_private_segment_buffer 1
		.amdhsa_user_sgpr_dispatch_ptr 0
		.amdhsa_user_sgpr_queue_ptr 0
		.amdhsa_user_sgpr_kernarg_segment_ptr 1
		.amdhsa_user_sgpr_dispatch_id 0
		.amdhsa_user_sgpr_flat_scratch_init 0
		.amdhsa_user_sgpr_private_segment_size 0
		.amdhsa_uses_dynamic_stack 0
		.amdhsa_system_sgpr_private_segment_wavefront_offset 0
		.amdhsa_system_sgpr_workgroup_id_x 1
		.amdhsa_system_sgpr_workgroup_id_y 0
		.amdhsa_system_sgpr_workgroup_id_z 0
		.amdhsa_system_sgpr_workgroup_info 0
		.amdhsa_system_vgpr_workitem_id 0
		.amdhsa_next_free_vgpr 51
		.amdhsa_next_free_sgpr 40
		.amdhsa_reserve_vcc 1
		.amdhsa_reserve_flat_scratch 0
		.amdhsa_float_round_mode_32 0
		.amdhsa_float_round_mode_16_64 0
		.amdhsa_float_denorm_mode_32 3
		.amdhsa_float_denorm_mode_16_64 3
		.amdhsa_dx10_clamp 1
		.amdhsa_ieee_mode 1
		.amdhsa_fp16_overflow 0
		.amdhsa_exception_fp_ieee_invalid_op 0
		.amdhsa_exception_fp_denorm_src 0
		.amdhsa_exception_fp_ieee_div_zero 0
		.amdhsa_exception_fp_ieee_overflow 0
		.amdhsa_exception_fp_ieee_underflow 0
		.amdhsa_exception_fp_ieee_inexact 0
		.amdhsa_exception_int_div_zero 0
	.end_amdhsa_kernel
	.section	.text._ZN9rocsolver6v33100L22stebz_synthesis_kernelIdPdEEv15rocblas_erange_15rocblas_eorder_iiiT0_iiPiS6_PT_lS6_lS6_liS6_S8_S8_S8_S8_S6_S7_,"axG",@progbits,_ZN9rocsolver6v33100L22stebz_synthesis_kernelIdPdEEv15rocblas_erange_15rocblas_eorder_iiiT0_iiPiS6_PT_lS6_lS6_liS6_S8_S8_S8_S8_S6_S7_,comdat
.Lfunc_end8:
	.size	_ZN9rocsolver6v33100L22stebz_synthesis_kernelIdPdEEv15rocblas_erange_15rocblas_eorder_iiiT0_iiPiS6_PT_lS6_lS6_liS6_S8_S8_S8_S8_S6_S7_, .Lfunc_end8-_ZN9rocsolver6v33100L22stebz_synthesis_kernelIdPdEEv15rocblas_erange_15rocblas_eorder_iiiT0_iiPiS6_PT_lS6_lS6_liS6_S8_S8_S8_S8_S6_S7_
                                        ; -- End function
	.set _ZN9rocsolver6v33100L22stebz_synthesis_kernelIdPdEEv15rocblas_erange_15rocblas_eorder_iiiT0_iiPiS6_PT_lS6_lS6_liS6_S8_S8_S8_S8_S6_S7_.num_vgpr, 51
	.set _ZN9rocsolver6v33100L22stebz_synthesis_kernelIdPdEEv15rocblas_erange_15rocblas_eorder_iiiT0_iiPiS6_PT_lS6_lS6_liS6_S8_S8_S8_S8_S6_S7_.num_agpr, 0
	.set _ZN9rocsolver6v33100L22stebz_synthesis_kernelIdPdEEv15rocblas_erange_15rocblas_eorder_iiiT0_iiPiS6_PT_lS6_lS6_liS6_S8_S8_S8_S8_S6_S7_.numbered_sgpr, 40
	.set _ZN9rocsolver6v33100L22stebz_synthesis_kernelIdPdEEv15rocblas_erange_15rocblas_eorder_iiiT0_iiPiS6_PT_lS6_lS6_liS6_S8_S8_S8_S8_S6_S7_.num_named_barrier, 0
	.set _ZN9rocsolver6v33100L22stebz_synthesis_kernelIdPdEEv15rocblas_erange_15rocblas_eorder_iiiT0_iiPiS6_PT_lS6_lS6_liS6_S8_S8_S8_S8_S6_S7_.private_seg_size, 0
	.set _ZN9rocsolver6v33100L22stebz_synthesis_kernelIdPdEEv15rocblas_erange_15rocblas_eorder_iiiT0_iiPiS6_PT_lS6_lS6_liS6_S8_S8_S8_S8_S6_S7_.uses_vcc, 1
	.set _ZN9rocsolver6v33100L22stebz_synthesis_kernelIdPdEEv15rocblas_erange_15rocblas_eorder_iiiT0_iiPiS6_PT_lS6_lS6_liS6_S8_S8_S8_S8_S6_S7_.uses_flat_scratch, 0
	.set _ZN9rocsolver6v33100L22stebz_synthesis_kernelIdPdEEv15rocblas_erange_15rocblas_eorder_iiiT0_iiPiS6_PT_lS6_lS6_liS6_S8_S8_S8_S8_S6_S7_.has_dyn_sized_stack, 0
	.set _ZN9rocsolver6v33100L22stebz_synthesis_kernelIdPdEEv15rocblas_erange_15rocblas_eorder_iiiT0_iiPiS6_PT_lS6_lS6_liS6_S8_S8_S8_S8_S6_S7_.has_recursion, 0
	.set _ZN9rocsolver6v33100L22stebz_synthesis_kernelIdPdEEv15rocblas_erange_15rocblas_eorder_iiiT0_iiPiS6_PT_lS6_lS6_liS6_S8_S8_S8_S8_S6_S7_.has_indirect_call, 0
	.section	.AMDGPU.csdata,"",@progbits
; Kernel info:
; codeLenInByte = 2940
; TotalNumSgprs: 44
; NumVgprs: 51
; ScratchSize: 0
; MemoryBound: 0
; FloatMode: 240
; IeeeMode: 1
; LDSByteSize: 0 bytes/workgroup (compile time only)
; SGPRBlocks: 5
; VGPRBlocks: 12
; NumSGPRsForWavesPerEU: 44
; NumVGPRsForWavesPerEU: 51
; Occupancy: 4
; WaveLimiterHint : 1
; COMPUTE_PGM_RSRC2:SCRATCH_EN: 0
; COMPUTE_PGM_RSRC2:USER_SGPR: 6
; COMPUTE_PGM_RSRC2:TRAP_HANDLER: 0
; COMPUTE_PGM_RSRC2:TGID_X_EN: 1
; COMPUTE_PGM_RSRC2:TGID_Y_EN: 0
; COMPUTE_PGM_RSRC2:TGID_Z_EN: 0
; COMPUTE_PGM_RSRC2:TIDIG_COMP_CNT: 0
	.section	.AMDGPU.gpr_maximums,"",@progbits
	.set amdgpu.max_num_vgpr, 0
	.set amdgpu.max_num_agpr, 0
	.set amdgpu.max_num_sgpr, 0
	.section	.AMDGPU.csdata,"",@progbits
	.type	__hip_cuid_715837f82e5becf6,@object ; @__hip_cuid_715837f82e5becf6
	.section	.bss,"aw",@nobits
	.globl	__hip_cuid_715837f82e5becf6
__hip_cuid_715837f82e5becf6:
	.byte	0                               ; 0x0
	.size	__hip_cuid_715837f82e5becf6, 1

	.ident	"AMD clang version 22.0.0git (https://github.com/RadeonOpenCompute/llvm-project roc-7.2.4 26084 f58b06dce1f9c15707c5f808fd002e18c2accf7e)"
	.section	".note.GNU-stack","",@progbits
	.addrsig
	.addrsig_sym __hip_cuid_715837f82e5becf6
	.amdgpu_metadata
---
amdhsa.kernels:
  - .args:
      - .address_space:  global
        .offset:         0
        .size:           8
        .value_kind:     global_buffer
      - .offset:         8
        .size:           4
        .value_kind:     by_value
      - .offset:         12
        .size:           4
        .value_kind:     by_value
      - .offset:         16
        .size:           4
        .value_kind:     by_value
      - .offset:         24
        .size:           4
        .value_kind:     hidden_block_count_x
      - .offset:         28
        .size:           4
        .value_kind:     hidden_block_count_y
      - .offset:         32
        .size:           4
        .value_kind:     hidden_block_count_z
      - .offset:         36
        .size:           2
        .value_kind:     hidden_group_size_x
      - .offset:         38
        .size:           2
        .value_kind:     hidden_group_size_y
      - .offset:         40
        .size:           2
        .value_kind:     hidden_group_size_z
      - .offset:         42
        .size:           2
        .value_kind:     hidden_remainder_x
      - .offset:         44
        .size:           2
        .value_kind:     hidden_remainder_y
      - .offset:         46
        .size:           2
        .value_kind:     hidden_remainder_z
      - .offset:         64
        .size:           8
        .value_kind:     hidden_global_offset_x
      - .offset:         72
        .size:           8
        .value_kind:     hidden_global_offset_y
      - .offset:         80
        .size:           8
        .value_kind:     hidden_global_offset_z
      - .offset:         88
        .size:           2
        .value_kind:     hidden_grid_dims
    .group_segment_fixed_size: 0
    .kernarg_segment_align: 8
    .kernarg_segment_size: 280
    .language:       OpenCL C
    .language_version:
      - 2
      - 0
    .max_flat_workgroup_size: 1024
    .name:           _ZN9rocsolver6v33100L10reset_infoIiiiEEvPT_T0_T1_S4_
    .private_segment_fixed_size: 0
    .sgpr_count:     12
    .sgpr_spill_count: 0
    .symbol:         _ZN9rocsolver6v33100L10reset_infoIiiiEEvPT_T0_T1_S4_.kd
    .uniform_work_group_size: 1
    .uses_dynamic_stack: false
    .vgpr_count:     4
    .vgpr_spill_count: 0
    .wavefront_size: 64
  - .args:
      - .offset:         0
        .size:           4
        .value_kind:     by_value
      - .offset:         4
        .size:           4
        .value_kind:     by_value
      - .offset:         8
        .size:           4
        .value_kind:     by_value
      - .address_space:  global
        .offset:         16
        .size:           8
        .value_kind:     global_buffer
      - .offset:         24
        .size:           4
        .value_kind:     by_value
      - .offset:         32
        .size:           8
        .value_kind:     by_value
      - .address_space:  global
        .offset:         40
        .size:           8
        .value_kind:     global_buffer
      - .address_space:  global
        .offset:         48
        .size:           8
        .value_kind:     global_buffer
      - .address_space:  global
        .offset:         56
        .size:           8
        .value_kind:     global_buffer
      - .offset:         64
        .size:           8
        .value_kind:     by_value
      - .address_space:  global
        .offset:         72
        .size:           8
        .value_kind:     global_buffer
      - .offset:         80
        .size:           8
        .value_kind:     by_value
      - .address_space:  global
        .offset:         88
        .size:           8
        .value_kind:     global_buffer
      - .offset:         96
        .size:           8
        .value_kind:     by_value
      - .offset:         104
        .size:           4
        .value_kind:     by_value
      - .offset:         112
        .size:           4
        .value_kind:     hidden_block_count_x
      - .offset:         116
        .size:           4
        .value_kind:     hidden_block_count_y
      - .offset:         120
        .size:           4
        .value_kind:     hidden_block_count_z
      - .offset:         124
        .size:           2
        .value_kind:     hidden_group_size_x
      - .offset:         126
        .size:           2
        .value_kind:     hidden_group_size_y
      - .offset:         128
        .size:           2
        .value_kind:     hidden_group_size_z
      - .offset:         130
        .size:           2
        .value_kind:     hidden_remainder_x
      - .offset:         132
        .size:           2
        .value_kind:     hidden_remainder_y
      - .offset:         134
        .size:           2
        .value_kind:     hidden_remainder_z
      - .offset:         152
        .size:           8
        .value_kind:     hidden_global_offset_x
      - .offset:         160
        .size:           8
        .value_kind:     hidden_global_offset_y
      - .offset:         168
        .size:           8
        .value_kind:     hidden_global_offset_z
      - .offset:         176
        .size:           2
        .value_kind:     hidden_grid_dims
    .group_segment_fixed_size: 0
    .kernarg_segment_align: 8
    .kernarg_segment_size: 368
    .language:       OpenCL C
    .language_version:
      - 2
      - 0
    .max_flat_workgroup_size: 1024
    .name:           _ZN9rocsolver6v33100L18stebz_case1_kernelIfPfEEv15rocblas_erange_T_S4_T0_ilPiS6_PS4_lS6_lS6_li
    .private_segment_fixed_size: 0
    .sgpr_count:     28
    .sgpr_spill_count: 0
    .symbol:         _ZN9rocsolver6v33100L18stebz_case1_kernelIfPfEEv15rocblas_erange_T_S4_T0_ilPiS6_PS4_lS6_lS6_li.kd
    .uniform_work_group_size: 1
    .uses_dynamic_stack: false
    .vgpr_count:     10
    .vgpr_spill_count: 0
    .wavefront_size: 64
  - .args:
      - .offset:         0
        .size:           4
        .value_kind:     by_value
      - .offset:         4
        .size:           4
        .value_kind:     by_value
      - .offset:         8
        .size:           4
        .value_kind:     by_value
      - .offset:         12
        .size:           4
        .value_kind:     by_value
      - .offset:         16
        .size:           4
        .value_kind:     by_value
      - .offset:         20
        .size:           4
        .value_kind:     by_value
      - .address_space:  global
        .offset:         24
        .size:           8
        .value_kind:     global_buffer
      - .offset:         32
        .size:           4
        .value_kind:     by_value
      - .offset:         36
        .size:           4
        .value_kind:     by_value
      - .address_space:  global
        .offset:         40
        .size:           8
        .value_kind:     global_buffer
      - .offset:         48
        .size:           4
        .value_kind:     by_value
      - .offset:         52
        .size:           4
        .value_kind:     by_value
      - .address_space:  global
        .offset:         56
        .size:           8
        .value_kind:     global_buffer
      - .address_space:  global
        .offset:         64
        .size:           8
        .value_kind:     global_buffer
      - .offset:         72
        .size:           8
        .value_kind:     by_value
      - .address_space:  global
        .offset:         80
        .size:           8
        .value_kind:     global_buffer
      - .offset:         88
        .size:           8
        .value_kind:     by_value
      - .address_space:  global
        .offset:         96
        .size:           8
        .value_kind:     global_buffer
      - .address_space:  global
        .offset:         104
        .size:           8
        .value_kind:     global_buffer
      - .address_space:  global
        .offset:         112
        .size:           8
        .value_kind:     global_buffer
      - .address_space:  global
        .offset:         120
        .size:           8
        .value_kind:     global_buffer
      - .address_space:  global
        .offset:         128
        .size:           8
        .value_kind:     global_buffer
      - .address_space:  global
        .offset:         136
        .size:           8
        .value_kind:     global_buffer
      - .offset:         144
        .size:           4
        .value_kind:     by_value
      - .offset:         148
        .size:           4
        .value_kind:     by_value
    .group_segment_fixed_size: 2048
    .kernarg_segment_align: 8
    .kernarg_segment_size: 152
    .language:       OpenCL C
    .language_version:
      - 2
      - 0
    .max_flat_workgroup_size: 256
    .name:           _ZN9rocsolver6v33100L22stebz_splitting_kernelIfPfEEv15rocblas_erange_iT_S4_iiT0_iiS5_iiPiPS4_lS6_lS6_S7_S7_S7_S7_S6_S4_S4_
    .private_segment_fixed_size: 0
    .sgpr_count:     60
    .sgpr_spill_count: 0
    .symbol:         _ZN9rocsolver6v33100L22stebz_splitting_kernelIfPfEEv15rocblas_erange_iT_S4_iiT0_iiS5_iiPiPS4_lS6_lS6_S7_S7_S7_S7_S6_S4_S4_.kd
    .uniform_work_group_size: 1
    .uses_dynamic_stack: false
    .vgpr_count:     21
    .vgpr_spill_count: 0
    .wavefront_size: 64
  - .args:
      - .offset:         0
        .size:           4
        .value_kind:     by_value
      - .offset:         4
        .size:           4
        .value_kind:     by_value
      - .offset:         8
        .size:           4
        .value_kind:     by_value
      - .address_space:  global
        .offset:         16
        .size:           8
        .value_kind:     global_buffer
      - .offset:         24
        .size:           4
        .value_kind:     by_value
      - .offset:         28
        .size:           4
        .value_kind:     by_value
      - .address_space:  global
        .offset:         32
        .size:           8
        .value_kind:     global_buffer
      - .offset:         40
        .size:           4
        .value_kind:     by_value
      - .offset:         44
        .size:           4
        .value_kind:     by_value
      - .address_space:  global
        .offset:         48
        .size:           8
        .value_kind:     global_buffer
      - .address_space:  global
        .offset:         56
        .size:           8
        .value_kind:     global_buffer
      - .offset:         64
        .size:           8
        .value_kind:     by_value
      - .address_space:  global
        .offset:         72
        .size:           8
        .value_kind:     global_buffer
      - .offset:         80
        .size:           8
        .value_kind:     by_value
      - .address_space:  global
        .offset:         88
        .size:           8
        .value_kind:     global_buffer
      - .offset:         96
        .size:           8
        .value_kind:     by_value
      - .address_space:  global
        .offset:         104
        .size:           8
        .value_kind:     global_buffer
      - .address_space:  global
        .offset:         112
        .size:           8
        .value_kind:     global_buffer
      - .address_space:  global
        .offset:         120
        .size:           8
        .value_kind:     global_buffer
      - .address_space:  global
        .offset:         128
        .size:           8
        .value_kind:     global_buffer
      - .address_space:  global
        .offset:         136
        .size:           8
        .value_kind:     global_buffer
      - .address_space:  global
        .offset:         144
        .size:           8
        .value_kind:     global_buffer
      - .address_space:  global
        .offset:         152
        .size:           8
        .value_kind:     global_buffer
      - .offset:         160
        .size:           4
        .value_kind:     by_value
      - .offset:         164
        .size:           4
        .value_kind:     by_value
    .group_segment_fixed_size: 4616
    .kernarg_segment_align: 8
    .kernarg_segment_size: 168
    .language:       OpenCL C
    .language_version:
      - 2
      - 0
    .max_flat_workgroup_size: 128
    .name:           _ZN9rocsolver6v33100L22stebz_bisection_kernelIfPfEEv15rocblas_erange_iT_T0_iiS5_iiPiPS4_lS6_lS6_lS6_S6_S7_S7_S7_S7_S6_S4_S4_
    .private_segment_fixed_size: 0
    .sgpr_count:     88
    .sgpr_spill_count: 0
    .symbol:         _ZN9rocsolver6v33100L22stebz_bisection_kernelIfPfEEv15rocblas_erange_iT_T0_iiS5_iiPiPS4_lS6_lS6_lS6_S6_S7_S7_S7_S7_S6_S4_S4_.kd
    .uniform_work_group_size: 1
    .uses_dynamic_stack: false
    .vgpr_count:     26
    .vgpr_spill_count: 0
    .wavefront_size: 64
  - .args:
      - .offset:         0
        .size:           4
        .value_kind:     by_value
      - .offset:         4
        .size:           4
        .value_kind:     by_value
      - .offset:         8
        .size:           4
        .value_kind:     by_value
      - .offset:         12
        .size:           4
        .value_kind:     by_value
      - .offset:         16
        .size:           4
        .value_kind:     by_value
      - .address_space:  global
        .offset:         24
        .size:           8
        .value_kind:     global_buffer
      - .offset:         32
        .size:           4
        .value_kind:     by_value
      - .offset:         36
        .size:           4
        .value_kind:     by_value
      - .address_space:  global
        .offset:         40
        .size:           8
        .value_kind:     global_buffer
      - .address_space:  global
        .offset:         48
        .size:           8
        .value_kind:     global_buffer
      - .address_space:  global
        .offset:         56
        .size:           8
        .value_kind:     global_buffer
      - .offset:         64
        .size:           8
        .value_kind:     by_value
      - .address_space:  global
        .offset:         72
        .size:           8
        .value_kind:     global_buffer
      - .offset:         80
        .size:           8
        .value_kind:     by_value
      - .address_space:  global
        .offset:         88
        .size:           8
        .value_kind:     global_buffer
      - .offset:         96
        .size:           8
        .value_kind:     by_value
      - .offset:         104
        .size:           4
        .value_kind:     by_value
      - .address_space:  global
        .offset:         112
        .size:           8
        .value_kind:     global_buffer
      - .address_space:  global
        .offset:         120
        .size:           8
        .value_kind:     global_buffer
      - .address_space:  global
        .offset:         128
        .size:           8
        .value_kind:     global_buffer
      - .address_space:  global
        .offset:         136
        .size:           8
        .value_kind:     global_buffer
      - .address_space:  global
        .offset:         144
        .size:           8
        .value_kind:     global_buffer
      - .address_space:  global
        .offset:         152
        .size:           8
        .value_kind:     global_buffer
      - .offset:         160
        .size:           4
        .value_kind:     by_value
      - .offset:         168
        .size:           4
        .value_kind:     hidden_block_count_x
      - .offset:         172
        .size:           4
        .value_kind:     hidden_block_count_y
      - .offset:         176
        .size:           4
        .value_kind:     hidden_block_count_z
      - .offset:         180
        .size:           2
        .value_kind:     hidden_group_size_x
      - .offset:         182
        .size:           2
        .value_kind:     hidden_group_size_y
      - .offset:         184
        .size:           2
        .value_kind:     hidden_group_size_z
      - .offset:         186
        .size:           2
        .value_kind:     hidden_remainder_x
      - .offset:         188
        .size:           2
        .value_kind:     hidden_remainder_y
      - .offset:         190
        .size:           2
        .value_kind:     hidden_remainder_z
      - .offset:         208
        .size:           8
        .value_kind:     hidden_global_offset_x
      - .offset:         216
        .size:           8
        .value_kind:     hidden_global_offset_y
      - .offset:         224
        .size:           8
        .value_kind:     hidden_global_offset_z
      - .offset:         232
        .size:           2
        .value_kind:     hidden_grid_dims
    .group_segment_fixed_size: 0
    .kernarg_segment_align: 8
    .kernarg_segment_size: 424
    .language:       OpenCL C
    .language_version:
      - 2
      - 0
    .max_flat_workgroup_size: 1024
    .name:           _ZN9rocsolver6v33100L22stebz_synthesis_kernelIfPfEEv15rocblas_erange_15rocblas_eorder_iiiT0_iiPiS6_PT_lS6_lS6_liS6_S8_S8_S8_S8_S6_S7_
    .private_segment_fixed_size: 0
    .sgpr_count:     44
    .sgpr_spill_count: 0
    .symbol:         _ZN9rocsolver6v33100L22stebz_synthesis_kernelIfPfEEv15rocblas_erange_15rocblas_eorder_iiiT0_iiPiS6_PT_lS6_lS6_liS6_S8_S8_S8_S8_S6_S7_.kd
    .uniform_work_group_size: 1
    .uses_dynamic_stack: false
    .vgpr_count:     42
    .vgpr_spill_count: 0
    .wavefront_size: 64
  - .args:
      - .offset:         0
        .size:           4
        .value_kind:     by_value
      - .offset:         8
        .size:           8
        .value_kind:     by_value
      - .offset:         16
        .size:           8
        .value_kind:     by_value
      - .address_space:  global
        .offset:         24
        .size:           8
        .value_kind:     global_buffer
      - .offset:         32
        .size:           4
        .value_kind:     by_value
      - .offset:         40
        .size:           8
        .value_kind:     by_value
      - .address_space:  global
        .offset:         48
        .size:           8
        .value_kind:     global_buffer
      - .address_space:  global
        .offset:         56
        .size:           8
        .value_kind:     global_buffer
      - .address_space:  global
        .offset:         64
        .size:           8
        .value_kind:     global_buffer
      - .offset:         72
        .size:           8
        .value_kind:     by_value
      - .address_space:  global
        .offset:         80
        .size:           8
        .value_kind:     global_buffer
      - .offset:         88
        .size:           8
        .value_kind:     by_value
      - .address_space:  global
        .offset:         96
        .size:           8
        .value_kind:     global_buffer
      - .offset:         104
        .size:           8
        .value_kind:     by_value
      - .offset:         112
        .size:           4
        .value_kind:     by_value
      - .offset:         120
        .size:           4
        .value_kind:     hidden_block_count_x
      - .offset:         124
        .size:           4
        .value_kind:     hidden_block_count_y
      - .offset:         128
        .size:           4
        .value_kind:     hidden_block_count_z
      - .offset:         132
        .size:           2
        .value_kind:     hidden_group_size_x
      - .offset:         134
        .size:           2
        .value_kind:     hidden_group_size_y
      - .offset:         136
        .size:           2
        .value_kind:     hidden_group_size_z
      - .offset:         138
        .size:           2
        .value_kind:     hidden_remainder_x
      - .offset:         140
        .size:           2
        .value_kind:     hidden_remainder_y
      - .offset:         142
        .size:           2
        .value_kind:     hidden_remainder_z
      - .offset:         160
        .size:           8
        .value_kind:     hidden_global_offset_x
      - .offset:         168
        .size:           8
        .value_kind:     hidden_global_offset_y
      - .offset:         176
        .size:           8
        .value_kind:     hidden_global_offset_z
      - .offset:         184
        .size:           2
        .value_kind:     hidden_grid_dims
    .group_segment_fixed_size: 0
    .kernarg_segment_align: 8
    .kernarg_segment_size: 376
    .language:       OpenCL C
    .language_version:
      - 2
      - 0
    .max_flat_workgroup_size: 1024
    .name:           _ZN9rocsolver6v33100L18stebz_case1_kernelIdPdEEv15rocblas_erange_T_S4_T0_ilPiS6_PS4_lS6_lS6_li
    .private_segment_fixed_size: 0
    .sgpr_count:     28
    .sgpr_spill_count: 0
    .symbol:         _ZN9rocsolver6v33100L18stebz_case1_kernelIdPdEEv15rocblas_erange_T_S4_T0_ilPiS6_PS4_lS6_lS6_li.kd
    .uniform_work_group_size: 1
    .uses_dynamic_stack: false
    .vgpr_count:     11
    .vgpr_spill_count: 0
    .wavefront_size: 64
  - .args:
      - .offset:         0
        .size:           4
        .value_kind:     by_value
      - .offset:         4
        .size:           4
        .value_kind:     by_value
      - .offset:         8
        .size:           8
        .value_kind:     by_value
      - .offset:         16
        .size:           8
        .value_kind:     by_value
      - .offset:         24
        .size:           4
        .value_kind:     by_value
      - .offset:         28
        .size:           4
        .value_kind:     by_value
      - .address_space:  global
        .offset:         32
        .size:           8
        .value_kind:     global_buffer
      - .offset:         40
        .size:           4
        .value_kind:     by_value
      - .offset:         44
        .size:           4
        .value_kind:     by_value
      - .address_space:  global
        .offset:         48
        .size:           8
        .value_kind:     global_buffer
      - .offset:         56
        .size:           4
        .value_kind:     by_value
      - .offset:         60
        .size:           4
        .value_kind:     by_value
      - .address_space:  global
        .offset:         64
        .size:           8
        .value_kind:     global_buffer
      - .address_space:  global
        .offset:         72
        .size:           8
        .value_kind:     global_buffer
      - .offset:         80
        .size:           8
        .value_kind:     by_value
      - .address_space:  global
        .offset:         88
        .size:           8
        .value_kind:     global_buffer
      - .offset:         96
        .size:           8
        .value_kind:     by_value
      - .address_space:  global
        .offset:         104
        .size:           8
        .value_kind:     global_buffer
      - .address_space:  global
        .offset:         112
        .size:           8
        .value_kind:     global_buffer
      - .address_space:  global
        .offset:         120
        .size:           8
        .value_kind:     global_buffer
      - .address_space:  global
        .offset:         128
        .size:           8
        .value_kind:     global_buffer
      - .address_space:  global
        .offset:         136
        .size:           8
        .value_kind:     global_buffer
      - .address_space:  global
        .offset:         144
        .size:           8
        .value_kind:     global_buffer
      - .offset:         152
        .size:           8
        .value_kind:     by_value
      - .offset:         160
        .size:           8
        .value_kind:     by_value
    .group_segment_fixed_size: 3072
    .kernarg_segment_align: 8
    .kernarg_segment_size: 168
    .language:       OpenCL C
    .language_version:
      - 2
      - 0
    .max_flat_workgroup_size: 256
    .name:           _ZN9rocsolver6v33100L22stebz_splitting_kernelIdPdEEv15rocblas_erange_iT_S4_iiT0_iiS5_iiPiPS4_lS6_lS6_S7_S7_S7_S7_S6_S4_S4_
    .private_segment_fixed_size: 0
    .sgpr_count:     62
    .sgpr_spill_count: 0
    .symbol:         _ZN9rocsolver6v33100L22stebz_splitting_kernelIdPdEEv15rocblas_erange_iT_S4_iiT0_iiS5_iiPiPS4_lS6_lS6_S7_S7_S7_S7_S6_S4_S4_.kd
    .uniform_work_group_size: 1
    .uses_dynamic_stack: false
    .vgpr_count:     30
    .vgpr_spill_count: 0
    .wavefront_size: 64
  - .args:
      - .offset:         0
        .size:           4
        .value_kind:     by_value
      - .offset:         4
        .size:           4
        .value_kind:     by_value
      - .offset:         8
        .size:           8
        .value_kind:     by_value
      - .address_space:  global
        .offset:         16
        .size:           8
        .value_kind:     global_buffer
      - .offset:         24
        .size:           4
        .value_kind:     by_value
      - .offset:         28
        .size:           4
        .value_kind:     by_value
      - .address_space:  global
        .offset:         32
        .size:           8
        .value_kind:     global_buffer
      - .offset:         40
        .size:           4
        .value_kind:     by_value
      - .offset:         44
        .size:           4
        .value_kind:     by_value
      - .address_space:  global
        .offset:         48
        .size:           8
        .value_kind:     global_buffer
      - .address_space:  global
        .offset:         56
        .size:           8
        .value_kind:     global_buffer
      - .offset:         64
        .size:           8
        .value_kind:     by_value
      - .address_space:  global
        .offset:         72
        .size:           8
        .value_kind:     global_buffer
      - .offset:         80
        .size:           8
        .value_kind:     by_value
      - .address_space:  global
        .offset:         88
        .size:           8
        .value_kind:     global_buffer
      - .offset:         96
        .size:           8
        .value_kind:     by_value
      - .address_space:  global
        .offset:         104
        .size:           8
        .value_kind:     global_buffer
      - .address_space:  global
        .offset:         112
        .size:           8
        .value_kind:     global_buffer
      - .address_space:  global
        .offset:         120
        .size:           8
        .value_kind:     global_buffer
      - .address_space:  global
        .offset:         128
        .size:           8
        .value_kind:     global_buffer
      - .address_space:  global
        .offset:         136
        .size:           8
        .value_kind:     global_buffer
      - .address_space:  global
        .offset:         144
        .size:           8
        .value_kind:     global_buffer
      - .address_space:  global
        .offset:         152
        .size:           8
        .value_kind:     global_buffer
      - .offset:         160
        .size:           8
        .value_kind:     by_value
      - .offset:         168
        .size:           8
        .value_kind:     by_value
    .group_segment_fixed_size: 6664
    .kernarg_segment_align: 8
    .kernarg_segment_size: 176
    .language:       OpenCL C
    .language_version:
      - 2
      - 0
    .max_flat_workgroup_size: 128
    .name:           _ZN9rocsolver6v33100L22stebz_bisection_kernelIdPdEEv15rocblas_erange_iT_T0_iiS5_iiPiPS4_lS6_lS6_lS6_S6_S7_S7_S7_S7_S6_S4_S4_
    .private_segment_fixed_size: 0
    .sgpr_count:     100
    .sgpr_spill_count: 0
    .symbol:         _ZN9rocsolver6v33100L22stebz_bisection_kernelIdPdEEv15rocblas_erange_iT_T0_iiS5_iiPiPS4_lS6_lS6_lS6_S6_S7_S7_S7_S7_S6_S4_S4_.kd
    .uniform_work_group_size: 1
    .uses_dynamic_stack: false
    .vgpr_count:     43
    .vgpr_spill_count: 0
    .wavefront_size: 64
  - .args:
      - .offset:         0
        .size:           4
        .value_kind:     by_value
      - .offset:         4
        .size:           4
        .value_kind:     by_value
      - .offset:         8
        .size:           4
        .value_kind:     by_value
      - .offset:         12
        .size:           4
        .value_kind:     by_value
      - .offset:         16
        .size:           4
        .value_kind:     by_value
      - .address_space:  global
        .offset:         24
        .size:           8
        .value_kind:     global_buffer
      - .offset:         32
        .size:           4
        .value_kind:     by_value
      - .offset:         36
        .size:           4
        .value_kind:     by_value
      - .address_space:  global
        .offset:         40
        .size:           8
        .value_kind:     global_buffer
      - .address_space:  global
        .offset:         48
        .size:           8
        .value_kind:     global_buffer
      - .address_space:  global
        .offset:         56
        .size:           8
        .value_kind:     global_buffer
      - .offset:         64
        .size:           8
        .value_kind:     by_value
      - .address_space:  global
        .offset:         72
        .size:           8
        .value_kind:     global_buffer
      - .offset:         80
        .size:           8
        .value_kind:     by_value
      - .address_space:  global
        .offset:         88
        .size:           8
        .value_kind:     global_buffer
      - .offset:         96
        .size:           8
        .value_kind:     by_value
      - .offset:         104
        .size:           4
        .value_kind:     by_value
      - .address_space:  global
        .offset:         112
        .size:           8
        .value_kind:     global_buffer
      - .address_space:  global
        .offset:         120
        .size:           8
        .value_kind:     global_buffer
      - .address_space:  global
        .offset:         128
        .size:           8
        .value_kind:     global_buffer
      - .address_space:  global
        .offset:         136
        .size:           8
        .value_kind:     global_buffer
      - .address_space:  global
        .offset:         144
        .size:           8
        .value_kind:     global_buffer
      - .address_space:  global
        .offset:         152
        .size:           8
        .value_kind:     global_buffer
      - .offset:         160
        .size:           8
        .value_kind:     by_value
      - .offset:         168
        .size:           4
        .value_kind:     hidden_block_count_x
      - .offset:         172
        .size:           4
        .value_kind:     hidden_block_count_y
      - .offset:         176
        .size:           4
        .value_kind:     hidden_block_count_z
      - .offset:         180
        .size:           2
        .value_kind:     hidden_group_size_x
      - .offset:         182
        .size:           2
        .value_kind:     hidden_group_size_y
      - .offset:         184
        .size:           2
        .value_kind:     hidden_group_size_z
      - .offset:         186
        .size:           2
        .value_kind:     hidden_remainder_x
      - .offset:         188
        .size:           2
        .value_kind:     hidden_remainder_y
      - .offset:         190
        .size:           2
        .value_kind:     hidden_remainder_z
      - .offset:         208
        .size:           8
        .value_kind:     hidden_global_offset_x
      - .offset:         216
        .size:           8
        .value_kind:     hidden_global_offset_y
      - .offset:         224
        .size:           8
        .value_kind:     hidden_global_offset_z
      - .offset:         232
        .size:           2
        .value_kind:     hidden_grid_dims
    .group_segment_fixed_size: 0
    .kernarg_segment_align: 8
    .kernarg_segment_size: 424
    .language:       OpenCL C
    .language_version:
      - 2
      - 0
    .max_flat_workgroup_size: 1024
    .name:           _ZN9rocsolver6v33100L22stebz_synthesis_kernelIdPdEEv15rocblas_erange_15rocblas_eorder_iiiT0_iiPiS6_PT_lS6_lS6_liS6_S8_S8_S8_S8_S6_S7_
    .private_segment_fixed_size: 0
    .sgpr_count:     44
    .sgpr_spill_count: 0
    .symbol:         _ZN9rocsolver6v33100L22stebz_synthesis_kernelIdPdEEv15rocblas_erange_15rocblas_eorder_iiiT0_iiPiS6_PT_lS6_lS6_liS6_S8_S8_S8_S8_S6_S7_.kd
    .uniform_work_group_size: 1
    .uses_dynamic_stack: false
    .vgpr_count:     51
    .vgpr_spill_count: 0
    .wavefront_size: 64
amdhsa.target:   amdgcn-amd-amdhsa--gfx906
amdhsa.version:
  - 1
  - 2
...

	.end_amdgpu_metadata
